;; amdgpu-corpus repo=ROCm/aiter kind=harvested arch=n/a opt=n/a

/root/src/amdgpu-assembly/repos/ROCm__aiter/hsa/gfx942/fmha_v3_bwd/bwd_hd128_fp16_causal_br_a32_psskddv_group.co:	file format elf64-amdgpu

Disassembly of section .text:

0000000000003e00 <_ZN5aiter47fmha_bwd_hd128_fp16_causal_br_a32_psskddv_groupE>:
	s_and_b32 s1, s1, 0xffff                                   // 000000003E00: 8601FF01 0000FFFF
	s_load_dwordx2 s[32:33], s[0:1], 0x0                       // 000000003E08: C0060800 00000000
	s_load_dwordx2 s[36:37], s[0:1], 0x10                      // 000000003E10: C0060900 00000010
	s_load_dwordx2 s[40:41], s[0:1], 0x20                      // 000000003E18: C0060A00 00000020
	s_load_dwordx2 s[8:9], s[0:1], 0x30                        // 000000003E20: C0060200 00000030
	s_load_dwordx2 s[12:13], s[0:1], 0x40                      // 000000003E28: C0060300 00000040
	s_load_dwordx2 s[16:17], s[0:1], 0x50                      // 000000003E30: C0060400 00000050
	s_load_dwordx2 s[20:21], s[0:1], 0x60                      // 000000003E38: C0060500 00000060
	s_load_dwordx2 s[24:25], s[0:1], 0x70                      // 000000003E40: C0060600 00000070
	s_load_dwordx2 s[28:29], s[0:1], 0x80                      // 000000003E48: C0060700 00000080
	s_load_dword s47, s[0:1], 0x90                             // 000000003E50: C0020BC0 00000090
	s_load_dword s48, s[0:1], 0xa0                             // 000000003E58: C0020C00 000000A0
	s_load_dword s78, s[0:1], 0xd0                             // 000000003E60: C0021380 000000D0
	s_load_dword s5, s[0:1], 0xf0                              // 000000003E68: C0020140 000000F0
	s_load_dword s44, s[0:1], 0x100                            // 000000003E70: C0020B00 00000100
	s_load_dword s79, s[0:1], 0x110                            // 000000003E78: C00213C0 00000110
	s_load_dword s6, s[0:1], 0x130                             // 000000003E80: C0020180 00000130
	s_load_dword s52, s[0:1], 0x140                            // 000000003E88: C0020D00 00000140
	s_load_dword s50, s[0:1], 0x160                            // 000000003E90: C0020C80 00000160
	s_load_dword s80, s[0:1], 0x190                            // 000000003E98: C0021400 00000190
	s_load_dword s7, s[0:1], 0x1b0                             // 000000003EA0: C00201C0 000001B0
	s_load_dword s81, s[0:1], 0x1c0                            // 000000003EA8: C0021440 000001C0
	s_load_dword s51, s[0:1], 0x1e0                            // 000000003EB0: C0020CC0 000001E0
	s_load_dword s82, s[0:1], 0x1f0                            // 000000003EB8: C0021480 000001F0
	s_load_dword s83, s[0:1], 0x210                            // 000000003EC0: C00214C0 00000210
	s_load_dword s53, s[0:1], 0x230                            // 000000003EC8: C0020D40 00000230
	s_load_dword s49, s[0:1], 0x240                            // 000000003ED0: C0020C40 00000240
	s_load_dwordx2 s[88:89], s[0:1], 0x250                     // 000000003ED8: C0061600 00000250
	s_load_dwordx2 s[92:93], s[0:1], 0x260                     // 000000003EE0: C0061700 00000260
	s_load_dwordx2 s[96:97], s[0:1], 0x270                     // 000000003EE8: C0061800 00000270
	s_load_dwordx2 s[100:101], s[0:1], 0x280                   // 000000003EF0: C0061900 00000280
	v_lshrrev_b32_e32 v1, 10, v0                               // 000000003EF8: 2002008A
	v_lshrrev_b32_e32 v2, 10, v1                               // 000000003EFC: 2004028A
	v_and_b32_e32 v2, 0x3ff, v2                                // 000000003F00: 260404FF 000003FF
	v_and_b32_e32 v1, 0x3ff, v1                                // 000000003F08: 260202FF 000003FF
	v_and_b32_e32 v0, 0x3ff, v0                                // 000000003F10: 260000FF 000003FF
	v_lshrrev_b32_e32 v3, 6, v0                                // 000000003F18: 20060086
	v_and_b32_e32 v0, 63, v0                                   // 000000003F1C: 260000BF
	s_mov_b32 s2, s2                                           // 000000003F20: BE820002
	s_mov_b32 s3, s3                                           // 000000003F24: BE830003
	s_mov_b32 s4, s4                                           // 000000003F28: BE840004
	v_readfirstlane_b32 s46, v3                                // 000000003F2C: 7E5C0503
	s_waitcnt lgkmcnt(0)                                       // 000000003F30: BF8CC07F
	s_mul_i32 s60, s4, 4                                       // 000000003F34: 923C8404
	s_add_u32 s88, s60, s88                                    // 000000003F38: 8058583C
	s_addc_u32 s89, 0, s89                                     // 000000003F3C: 82595980
	s_load_dwordx2 s[84:85], s[88:89], 0x0                     // 000000003F40: C006152C 00000000
	s_add_u32 s96, s60, s96                                    // 000000003F48: 8060603C
	s_addc_u32 s97, 0, s97                                     // 000000003F4C: 82616180
	s_load_dword s90, s[96:97], 0x0                            // 000000003F50: C00216B0 00000000
	s_add_u32 s92, s60, s92                                    // 000000003F58: 805C5C3C
	s_addc_u32 s93, 0, s93                                     // 000000003F5C: 825D5D80
	s_load_dwordx2 s[86:87], s[92:93], 0x0                     // 000000003F60: C00615AE 00000000
	s_add_u32 s100, s60, s100                                  // 000000003F68: 8064643C
	s_addc_u32 s101, 0, s101                                   // 000000003F6C: 82656580
	s_load_dword s94, s[100:101], 0x0                          // 000000003F70: C00217B2 00000000
	s_mov_b32 s11, 0x20000                                     // 000000003F78: BE8B00FF 00020000
	s_mov_b32 s15, 0x20000                                     // 000000003F80: BE8F00FF 00020000
	s_mov_b32 s19, 0x20000                                     // 000000003F88: BE9300FF 00020000
	s_mov_b32 s23, 0x20000                                     // 000000003F90: BE9700FF 00020000
	s_mov_b32 s27, 0x20000                                     // 000000003F98: BE9B00FF 00020000
	s_mov_b32 s31, 0x20000                                     // 000000003FA0: BE9F00FF 00020000
	s_mov_b32 s35, 0x20000                                     // 000000003FA8: BEA300FF 00020000
	s_mov_b32 s39, 0x20000                                     // 000000003FB0: BEA700FF 00020000
	s_mov_b32 s43, 0x20000                                     // 000000003FB8: BEAB00FF 00020000
	s_and_b32 s9, s9, 0xffff                                   // 000000003FC0: 8609FF09 0000FFFF
	s_and_b32 s13, s13, 0xffff                                 // 000000003FC8: 860DFF0D 0000FFFF
	s_and_b32 s17, s17, 0xffff                                 // 000000003FD0: 8611FF11 0000FFFF
	s_and_b32 s21, s21, 0xffff                                 // 000000003FD8: 8615FF15 0000FFFF
	s_and_b32 s25, s25, 0xffff                                 // 000000003FE0: 8619FF19 0000FFFF
	s_and_b32 s29, s29, 0xffff                                 // 000000003FE8: 861DFF1D 0000FFFF
	s_and_b32 s33, s33, 0xffff                                 // 000000003FF0: 8621FF21 0000FFFF
	s_and_b32 s37, s37, 0xffff                                 // 000000003FF8: 8625FF25 0000FFFF
	s_and_b32 s41, s41, 0xffff                                 // 000000004000: 8629FF29 0000FFFF
	s_or_b32 s9, s9, 0x40000                                   // 000000004008: 8709FF09 00040000
	s_or_b32 s13, s13, 0x40000                                 // 000000004010: 870DFF0D 00040000
	s_or_b32 s17, s17, 0x40000                                 // 000000004018: 8711FF11 00040000
	s_or_b32 s21, s21, 0x40000                                 // 000000004020: 8715FF15 00040000
	s_or_b32 s25, s25, 0x40000                                 // 000000004028: 8719FF19 00040000
	s_or_b32 s29, s29, 0x40000                                 // 000000004030: 871DFF1D 00040000
	s_or_b32 s33, s33, 0x40000                                 // 000000004038: 8721FF21 00040000
	s_or_b32 s37, s37, 0x40000                                 // 000000004040: 8725FF25 00040000
	s_or_b32 s41, s41, 0x40000                                 // 000000004048: 8729FF29 00040000
	v_accvgpr_write_b32 a255, 0                                // 000000004050: D3D940FF 18000080
	v_mov_b32_e32 v252, 0                                      // 000000004058: 7FF80280
	s_mov_b32 s71, s3                                          // 00000000405C: BEC70003
	v_cvt_f32_u32_e32 v28, s44                                 // 000000004060: 7E380C2C
	s_sub_i32 s60, 0, s44                                      // 000000004064: 81BC2C80
	v_rcp_iflag_f32_e32 v28, v28                               // 000000004068: 7E38471C
	s_nop 0                                                    // 00000000406C: BF800000
	v_mul_f32_e32 v28, 0x4f7ffffe, v28                         // 000000004070: 0A3838FF 4F7FFFFE
	v_cvt_u32_f32_e32 v28, v28                                 // 000000004078: 7E380F1C
	v_mul_lo_u32 v29, s60, v28                                 // 00000000407C: D285001D 0002383C
	v_mul_hi_u32 v29, v28, v29                                 // 000000004084: D286001D 00023B1C
	v_add_u32_e32 v28, v28, v29                                // 00000000408C: 68383B1C
	v_mul_hi_u32 v28, s71, v28                                 // 000000004090: D286001C 00023847
	v_mul_lo_u32 v29, v28, s44                                 // 000000004098: D285001D 0000591C
	v_sub_u32_e32 v31, s71, v29                                // 0000000040A0: 6A3E3A47
	v_add_u32_e32 v30, 1, v28                                  // 0000000040A4: 683C3881
	v_cmp_le_u32_e32 vcc, s44, v31                             // 0000000040A8: 7D963E2C
	v_subrev_u32_e32 v29, s44, v31                             // 0000000040AC: 6C3A3E2C
	s_nop 0                                                    // 0000000040B0: BF800000
	v_cndmask_b32_e32 v28, v28, v30, vcc                       // 0000000040B4: 00383D1C
	v_cndmask_b32_e32 v31, v31, v29, vcc                       // 0000000040B8: 003E3B1F
	v_add_u32_e32 v29, 1, v28                                  // 0000000040BC: 683A3881
	v_cmp_le_u32_e32 vcc, s44, v31                             // 0000000040C0: 7D963E2C
	s_nop 1                                                    // 0000000040C4: BF800001
	v_cndmask_b32_e32 v31, v28, v29, vcc                       // 0000000040C8: 003E3B1C
	s_nop 3                                                    // 0000000040CC: BF800003
	v_readfirstlane_b32 s45, v31                               // 0000000040D0: 7E5A051F
	s_nop 3                                                    // 0000000040D4: BF800003
	s_waitcnt lgkmcnt(0)                                       // 0000000040D8: BF8CC07F
	s_mul_i32 s61, s2, 0x180                                   // 0000000040DC: 923DFF02 00000180
	s_sub_i32 s87, s87, s86                                    // 0000000040E4: 81D75657
	s_mov_b32 s86, s94                                         // 0000000040E8: BED6005E
	s_sub_i32 s85, s85, s84                                    // 0000000040EC: 81D55455
	s_mov_b32 s84, s90                                         // 0000000040F0: BED4005A
	s_cmp_gt_i32 s85, 0                                        // 0000000040F4: BF028055
	s_cbranch_scc0 label_1A76                                  // 0000000040F8: BF8419A3
	s_mov_b32 s59, 0                                           // 0000000040FC: BEBB0080
	s_mov_b32 s58, s85                                         // 000000004100: BEBA0055
	s_cmp_ge_i32 s61, s87                                      // 000000004104: BF03573D
	s_cbranch_scc1 label_1A76                                  // 000000004108: BF85199F
	s_mul_i32 s61, s45, s79                                    // 00000000410C: 923D4F2D
	s_mov_b32 s54, s61                                         // 000000004110: BEB6003D
	s_add_u32 s12, s54, s12                                    // 000000004114: 800C0C36
	s_addc_u32 s13, 0, s13                                     // 000000004118: 820D0D80
	s_mul_i32 s60, s86, s6                                     // 00000000411C: 923C0656
	s_mul_hi_u32 s61, s86, s6                                  // 000000004120: 963D0656
	s_and_b32 s61, s61, 0xffff                                 // 000000004124: 863DFF3D 0000FFFF
	s_add_u32 s12, s12, s60                                    // 00000000412C: 800C3C0C
	s_addc_u32 s13, s13, s61                                   // 000000004130: 820D3D0D
	s_mul_i32 s61, s45, s80                                    // 000000004134: 923D502D
	s_mov_b32 s54, s61                                         // 000000004138: BEB6003D
	s_add_u32 s16, s54, s16                                    // 00000000413C: 80101036
	s_addc_u32 s17, 0, s17                                     // 000000004140: 82111180
	s_mul_i32 s60, s86, s7                                     // 000000004144: 923C0756
	s_mul_hi_u32 s61, s86, s7                                  // 000000004148: 963D0756
	s_and_b32 s61, s61, 0xffff                                 // 00000000414C: 863DFF3D 0000FFFF
	s_add_u32 s16, s16, s60                                    // 000000004154: 80103C10
	s_addc_u32 s17, s17, s61                                   // 000000004158: 82113D11
	s_mul_i32 s61, s3, s78                                     // 00000000415C: 923D4E03
	s_mov_b32 s55, s61                                         // 000000004160: BEB7003D
	s_add_u32 s8, s55, s8                                      // 000000004164: 80080837
	s_addc_u32 s9, 0, s9                                       // 000000004168: 82090980
	s_mul_i32 s60, s84, s5                                     // 00000000416C: 923C0554
	s_mul_hi_u32 s61, s84, s5                                  // 000000004170: 963D0554
	s_and_b32 s61, s61, 0xffff                                 // 000000004174: 863DFF3D 0000FFFF
	s_add_u32 s8, s8, s60                                      // 00000000417C: 80083C08
	s_addc_u32 s9, s9, s61                                     // 000000004180: 82093D09
	s_mul_i32 s61, s3, s81                                     // 000000004184: 923D5103
	s_mov_b32 s56, s61                                         // 000000004188: BEB8003D
	s_add_u32 s20, s56, s20                                    // 00000000418C: 80141438
	s_addc_u32 s21, 0, s21                                     // 000000004190: 82151580
	s_mul_i32 s60, s84, s51                                    // 000000004194: 923C3354
	s_mul_hi_u32 s61, s84, s51                                 // 000000004198: 963D3354
	s_and_b32 s61, s61, 0xffff                                 // 00000000419C: 863DFF3D 0000FFFF
	s_add_u32 s20, s20, s60                                    // 0000000041A4: 80143C14
	s_addc_u32 s21, s21, s61                                   // 0000000041A8: 82153D15
	s_mul_i32 s62, 4, s84                                      // 0000000041AC: 923E5484
	s_mul_i32 s61, s3, s49                                     // 0000000041B0: 923D3103
	s_add_u32 s65, s61, s62                                    // 0000000041B4: 80413E3D
	s_mov_b32 s26, s85                                         // 0000000041B8: BE9A0055
	s_mov_b32 s30, s85                                         // 0000000041BC: BE9E0055
	s_add_u32 s24, s65, s24                                    // 0000000041C0: 80181841
	s_addc_u32 s25, 0, s25                                     // 0000000041C4: 82191980
	s_add_u32 s28, s65, s28                                    // 0000000041C8: 801C1C41
	s_addc_u32 s29, 0, s29                                     // 0000000041CC: 821D1D80
	s_mul_i32 s61, s3, s82                                     // 0000000041D0: 923D5203
	s_mul_i32 s62, s86, s52                                    // 0000000041D4: 923E3456
	s_add_u32 s60, s61, s62                                    // 0000000041D8: 803C3E3D
	s_mul_hi_u32 s61, s86, s52                                 // 0000000041DC: 963D3456
	s_and_b32 s61, s61, 0xffff                                 // 0000000041E0: 863DFF3D 0000FFFF
	s_add_u32 s36, s60, s36                                    // 0000000041E8: 8024243C
	s_addc_u32 s37, s61, s37                                   // 0000000041EC: 8225253D
	s_mul_i32 s60, s87, s52                                    // 0000000041F0: 923C3457
	s_lshr_b32 s60, s60, 2                                     // 0000000041F4: 8F3C823C
	s_mov_b32 s38, s60                                         // 0000000041F8: BEA6003C
	s_mul_i32 s61, s3, s83                                     // 0000000041FC: 923D5303
	s_mul_i32 s62, s86, s53                                    // 000000004200: 923E3556
	s_add_u32 s60, s61, s62                                    // 000000004204: 803C3E3D
	s_mul_hi_u32 s61, s86, s53                                 // 000000004208: 963D3556
	s_and_b32 s61, s61, 0xffff                                 // 00000000420C: 863DFF3D 0000FFFF
	s_add_u32 s40, s60, s40                                    // 000000004214: 8028283C
	s_addc_u32 s41, s61, s41                                   // 000000004218: 8229293D
	s_mul_i32 s60, s87, s53                                    // 00000000421C: 923C3557
	s_lshr_b32 s60, s60, 2                                     // 000000004220: 8F3C823C
	s_mov_b32 s42, s60                                         // 000000004224: BEAA003C
	s_mul_i32 s60, s50, s65                                    // 000000004228: 923C4132
	s_mul_hi_u32 s62, s50, s65                                 // 00000000422C: 963E4132
	s_and_b32 s62, s62, 0xffff                                 // 000000004230: 863EFF3E 0000FFFF
	s_add_u32 s32, s60, s32                                    // 000000004238: 8020203C
	s_addc_u32 s33, s62, s33                                   // 00000000423C: 8221213E
	s_mul_i32 s60, s50, s85                                    // 000000004240: 923C5532
	s_lshl_b32 s60, s60, 2                                     // 000000004244: 8E3C823C
	s_mov_b32 s34, s60                                         // 000000004248: BEA2003C
	s_mov_b32 s90, s8                                          // 00000000424C: BEDA0008
	s_mov_b32 s94, s12                                         // 000000004250: BEDE000C
	s_mov_b32 s96, s16                                         // 000000004254: BEE00010
	s_mov_b32 s98, s20                                         // 000000004258: BEE20014
	s_mov_b32 s91, s9                                          // 00000000425C: BEDB0009
	s_mov_b32 s95, s13                                         // 000000004260: BEDF000D
	s_mov_b32 s97, s17                                         // 000000004264: BEE10011
	s_mov_b32 s99, s21                                         // 000000004268: BEE30015
	s_add_u32 s71, 0xbf, s87                                   // 00000000426C: 804757FF 000000BF
	s_mov_b32 s74, 0xc0                                        // 000000004274: BECA00FF 000000C0
	v_cvt_f32_u32_e32 v28, s74                                 // 00000000427C: 7E380C4A
	s_sub_i32 s60, 0, s74                                      // 000000004280: 81BC4A80
	v_rcp_iflag_f32_e32 v28, v28                               // 000000004284: 7E38471C
	s_nop 0                                                    // 000000004288: BF800000
	v_mul_f32_e32 v28, 0x4f7ffffe, v28                         // 00000000428C: 0A3838FF 4F7FFFFE
	v_cvt_u32_f32_e32 v28, v28                                 // 000000004294: 7E380F1C
	v_mul_lo_u32 v29, s60, v28                                 // 000000004298: D285001D 0002383C
	v_mul_hi_u32 v29, v28, v29                                 // 0000000042A0: D286001D 00023B1C
	v_add_u32_e32 v28, v28, v29                                // 0000000042A8: 68383B1C
	v_mul_hi_u32 v28, s71, v28                                 // 0000000042AC: D286001C 00023847
	v_mul_lo_u32 v29, v28, s74                                 // 0000000042B4: D285001D 0000951C
	v_sub_u32_e32 v31, s71, v29                                // 0000000042BC: 6A3E3A47
	v_add_u32_e32 v30, 1, v28                                  // 0000000042C0: 683C3881
	v_cmp_le_u32_e32 vcc, s74, v31                             // 0000000042C4: 7D963E4A
	v_subrev_u32_e32 v29, s74, v31                             // 0000000042C8: 6C3A3E4A
	s_nop 0                                                    // 0000000042CC: BF800000
	v_cndmask_b32_e32 v28, v28, v30, vcc                       // 0000000042D0: 00383D1C
	v_cndmask_b32_e32 v31, v31, v29, vcc                       // 0000000042D4: 003E3B1F
	v_add_u32_e32 v29, 1, v28                                  // 0000000042D8: 683A3881
	v_cmp_le_u32_e32 vcc, s74, v31                             // 0000000042DC: 7D963E4A
	s_nop 1                                                    // 0000000042E0: BF800001
	v_cndmask_b32_e32 v31, v28, v29, vcc                       // 0000000042E4: 003E3B1C
	s_nop 3                                                    // 0000000042E8: BF800003
	v_readfirstlane_b32 s77, v31                               // 0000000042EC: 7E9A051F
	s_nop 3                                                    // 0000000042F0: BF800003
	v_mov_b32_e32 v28, s47                                     // 0000000042F4: 7E38022F
	v_mul_f32_e32 v28, s48, v28                                // 0000000042F8: 0A383830
	s_mov_b32 s63, 0x5040100                                   // 0000000042FC: BEBF00FF 05040100
	s_mov_b32 s64, 0x7060302                                   // 000000004304: BEC000FF 07060302
	v_readfirstlane_b32 s57, v28                               // 00000000430C: 7E72051C
	v_mov_b32_e32 v30, 0x3020706                               // 000000004310: 7E3C02FF 03020706
	v_mov_b32_e32 v28, s63                                     // 000000004318: 7E38023F
	v_and_b32_e32 v29, 1, v0                                   // 00000000431C: 263A0081
	v_cmp_eq_u32_e32 vcc, 1, v29                               // 000000004320: 7D943A81
	s_mul_i32 s60, s50, 64                                     // 000000004324: 923CC032
	s_mov_b32 s67, s60                                         // 000000004328: BEC3003C
	v_cndmask_b32_e32 v15, v28, v30, vcc                       // 00000000432C: 001E3D1C
	s_cmp_lt_u32 s46, 2                                        // 000000004330: BF0A822E
	s_cselect_b32 s24, s24, s28                                // 000000004334: 85181C18
	s_cselect_b32 s25, s25, s29                                // 000000004338: 85191D19
	s_cselect_b32 s26, s26, s30                                // 00000000433C: 851A1E1A
	s_cselect_b32 s27, s27, s31                                // 000000004340: 851B1F1B
	s_lshr_b32 s60, s46, 1                                     // 000000004344: 8F3C812E
	s_lshl_b32 s60, s60, 8                                     // 000000004348: 8E3C883C
	s_add_u32 s78, 0xc600, s60                                 // 00000000434C: 804E3CFF 0000C600
	s_add_u32 s79, 0x200, s78                                  // 000000004354: 804F4EFF 00000200
	s_mov_b32 s75, 0                                           // 00000000435C: BECB0080
	s_mov_b32 s76, 1                                           // 000000004360: BECC0081
	s_lshl_b32 s60, s2, 1                                      // 000000004364: 8E3C8102
	s_add_u32 s60, 1, s60                                      // 000000004368: 803C3C81
	s_cmp_ge_i32 s60, s77                                      // 00000000436C: BF034D3C
	s_cselect_b32 s76, s76, 2                                  // 000000004370: 854C824C

0000000000004374 <label_015D>:
	v_lshrrev_b32_e32 v28, 2, v0                               // 000000004374: 20380082
	v_and_b32_e32 v29, 3, v28                                  // 000000004378: 263A3883
	v_lshrrev_b32_e32 v30, 3, v28                              // 00000000437C: 203C3883
	v_lshlrev_b32_e32 v30, 2, v30                              // 000000004380: 243C3C82
	v_add_u32_e32 v28, v30, v29                                // 000000004384: 68383B1E
	s_lshr_b32 s60, s46, 1                                     // 000000004388: 8F3C812E
	s_sub_i32 s60, 1, s60                                      // 00000000438C: 81BC3C81
	v_mul_i32_i24_e64 v29, s60, 8                              // 000000004390: D106001D 0001103C
	v_mov_b32_e32 v30, s50                                     // 000000004398: 7E3C0232
	v_sub_u32_e64 v30, v30, 64                                 // 00000000439C: D135001E 0001811E
	v_lshrrev_b32_e32 v30, 3, v30                              // 0000000043A4: 203C3C83
	v_add_u32_e32 v29, v30, v29                                // 0000000043A8: 683A3B1E
	v_cmp_lt_u32_e64 s[80:81], v28, v29                        // 0000000043AC: D0C90050 00023B1C
	s_mov_b32 m0, s78                                          // 0000000043B4: BEFC004E
	s_mov_b32 s66, 0                                           // 0000000043B8: BEC20080
	v_mov_b32_e32 v151, 0xff800000                             // 0000000043BC: 7F2E02FF FF800000
	s_mov_b32 s74, 0                                           // 0000000043C4: BECA0080
	s_mul_i32 s68, 4, s5                                       // 0000000043C8: 92440584
	s_mul_i32 s100, 4, s51                                     // 0000000043CC: 92643384
	s_mov_b32 s69, 16                                          // 0000000043D0: BEC50090
	s_mul_i32 s83, 0xc0, s2                                    // 0000000043D4: 925302FF 000000C0
	s_sub_i32 s60, s87, s85                                    // 0000000043DC: 81BC5557
	s_sub_i32 s71, s83, s60                                    // 0000000043E0: 81C73C53
	s_cmp_ge_i32 s71, 0                                        // 0000000043E4: BF038047
	s_cselect_b32 s59, s71, 0                                  // 0000000043E8: 853B8047
	s_add_i32 s60, s71, 0xc0                                   // 0000000043EC: 813CFF47 000000C0
	s_cmp_le_i32 s60, 0                                        // 0000000043F4: BF05803C
	s_cbranch_scc0 label_0181                                  // 0000000043F8: BF840002
	s_mov_b32 s82, 0                                           // 0000000043FC: BED20080
	s_branch label_018D                                        // 000000004400: BF82000C

0000000000004404 <label_0181>:
	s_mov_b32 s82, 1                                           // 000000004404: BED20081
	s_sub_i32 s60, s59, s71                                    // 000000004408: 81BC473B
	v_lshrrev_b32_e32 v28, 4, v0                               // 00000000440C: 20380084
	v_mul_i32_i24_e32 v28, 4, v28                              // 000000004410: 0C383884
	v_add_i32 v28, v28, s60                                    // 000000004414: D29C001C 0000791C
	v_and_b32_e32 v29, 15, v0                                  // 00000000441C: 263A008F
	v_mul_i32_i24_e64 v30, s46, 16                             // 000000004420: D106001E 0001202E
	v_add_u32_e32 v29, v29, v30                                // 000000004428: 683A3D1D
	v_sub_i32 v252, v29, v28                                   // 00000000442C: D29D00FC 0002391D

0000000000004434 <label_018D>:
	s_mul_i32 s54, s6, s83                                     // 000000004434: 92365306
	s_sub_i32 s61, s87, s83                                    // 000000004438: 81BD5357
	s_mul_i32 s62, s6, s61                                     // 00000000443C: 923E3D06
	s_lshr_b32 s62, s62, 2                                     // 000000004440: 8F3E823E
	s_mov_b32 s14, s62                                         // 000000004444: BE8E003E
	s_add_u32 s12, s54, s94                                    // 000000004448: 800C5E36
	s_addc_u32 s13, 0, s95                                     // 00000000444C: 820D5F80
	s_mul_i32 s54, s7, s83                                     // 000000004450: 92365307
	s_mul_i32 s62, s7, s61                                     // 000000004454: 923E3D07
	s_lshr_b32 s62, s62, 2                                     // 000000004458: 8F3E823E
	s_mov_b32 s18, s62                                         // 00000000445C: BE92003E
	s_add_u32 s16, s54, s96                                    // 000000004460: 80106036
	s_addc_u32 s17, 0, s97                                     // 000000004464: 82116180
	s_mov_b32 s71, s6                                          // 000000004468: BEC70006
	v_lshrrev_b32_e32 v28, 4, v0                               // 00000000446C: 20380084
	v_and_b32_e32 v29, 1, v28                                  // 000000004470: 263A3881
	v_lshlrev_b32_e32 v29, 1, v29                              // 000000004474: 243A3A81
	v_mul_i32_i24_e32 v29, s71, v29                            // 000000004478: 0C3A3A47
	v_and_b32_e32 v30, 2, v28                                  // 00000000447C: 263C3882
	v_lshlrev_b32_e32 v30, 5, v30                              // 000000004480: 243C3C85
	v_add_u32_e32 v29, v30, v29                                // 000000004484: 683A3B1E
	v_and_b32_e32 v28, 15, v0                                  // 000000004488: 2638008F
	v_lshlrev_b32_e32 v28, 2, v28                              // 00000000448C: 24383882
	v_add_u32_e32 v1, v28, v29                                 // 000000004490: 68023B1C
	s_and_b32 s60, 1, s46                                      // 000000004494: 863C2E81
	s_mul_i32 s60, s60, s71                                    // 000000004498: 923C473C
	s_mul_i32 s60, s60, 8                                      // 00000000449C: 923C883C
	s_lshr_b32 s61, s46, 1                                     // 0000000044A0: 8F3D812E
	s_mul_i32 s61, s61, 0x80                                   // 0000000044A4: 923DFF3D 00000080
	s_add_u32 s60, s60, s61                                    // 0000000044AC: 803C3D3C
	v_add_u32_e32 v1, s60, v1                                  // 0000000044B0: 6802023C
	v_add_u32_e32 v2, s71, v1                                  // 0000000044B4: 68040247
	s_mul_i32 s60, 4, s71                                      // 0000000044B8: 923C4784
	v_add_u32_e32 v3, s60, v1                                  // 0000000044BC: 6806023C
	v_add_u32_e32 v4, s60, v2                                  // 0000000044C0: 6808043C
	s_mov_b32 s71, s7                                          // 0000000044C4: BEC70007
	v_lshrrev_b32_e32 v28, 4, v0                               // 0000000044C8: 20380084
	v_and_b32_e32 v29, 1, v28                                  // 0000000044CC: 263A3881
	v_lshlrev_b32_e32 v29, 1, v29                              // 0000000044D0: 243A3A81
	v_mul_i32_i24_e32 v29, s71, v29                            // 0000000044D4: 0C3A3A47
	v_and_b32_e32 v30, 2, v28                                  // 0000000044D8: 263C3882
	v_lshlrev_b32_e32 v30, 5, v30                              // 0000000044DC: 243C3C85
	v_add_u32_e32 v29, v30, v29                                // 0000000044E0: 683A3B1E
	v_and_b32_e32 v28, 15, v0                                  // 0000000044E4: 2638008F
	v_lshlrev_b32_e32 v28, 2, v28                              // 0000000044E8: 24383882
	v_add_u32_e32 v248, v28, v29                               // 0000000044EC: 69F03B1C
	s_and_b32 s60, 1, s46                                      // 0000000044F0: 863C2E81
	s_mul_i32 s60, s60, s71                                    // 0000000044F4: 923C473C
	s_mul_i32 s60, s60, 8                                      // 0000000044F8: 923C883C
	s_lshr_b32 s61, s46, 1                                     // 0000000044FC: 8F3D812E
	s_mul_i32 s61, s61, 0x80                                   // 000000004500: 923DFF3D 00000080
	s_add_u32 s60, s60, s61                                    // 000000004508: 803C3D3C
	v_add_u32_e32 v248, s60, v248                              // 00000000450C: 69F1F03C
	v_add_u32_e32 v249, s71, v248                              // 000000004510: 69F3F047
	s_mul_i32 s60, 4, s71                                      // 000000004514: 923C4784
	v_add_u32_e32 v250, s60, v248                              // 000000004518: 69F5F03C
	v_add_u32_e32 v251, s60, v249                              // 00000000451C: 69F7F23C
	v_lshrrev_b32_e32 v1, 2, v1                                // 000000004520: 20020282
	v_lshrrev_b32_e32 v2, 2, v2                                // 000000004524: 20040482
	;; [unrolled: 1-line block ×3, first 2 shown]
	v_lshrrev_b32_e32 v4, 2, v4                                // 00000000452C: 20080882
	v_lshrrev_b32_e32 v248, 2, v248                            // 000000004530: 21F1F082
	v_lshrrev_b32_e32 v249, 2, v249                            // 000000004534: 21F3F282
	v_lshrrev_b32_e32 v250, 2, v250                            // 000000004538: 21F5F482
	v_lshrrev_b32_e32 v251, 2, v251                            // 00000000453C: 21F7F682
	s_mov_b32 s70, s52                                         // 000000004540: BEC60034
	v_lshrrev_b32_e32 v28, 4, v0                               // 000000004544: 20380084
	v_mul_i32_i24_e32 v5, s70, v28                             // 000000004548: 0C0A3846
	v_lshrrev_b32_e32 v5, 2, v5                                // 00000000454C: 200A0A82
	v_and_b32_e32 v28, 15, v0                                  // 000000004550: 2638008F
	v_lshlrev_b32_e32 v29, 2, v28                              // 000000004554: 243A3882
	v_add_u32_e32 v5, v29, v5                                  // 000000004558: 680A0B1D
	s_mul_i32 s60, 16, s70                                     // 00000000455C: 923C4690
	s_mul_i32 s60, s46, s60                                    // 000000004560: 923C3C2E
	v_lshlrev_b32_e32 v5, 2, v5                                // 000000004564: 240A0A82
	v_add_u32_e32 v5, s60, v5                                  // 000000004568: 680A0A3C
	s_mul_i32 s60, s52, s83                                    // 00000000456C: 923C5334
	v_add_u32_e32 v5, s60, v5                                  // 000000004570: 680A0A3C
	v_lshrrev_b32_e32 v5, 2, v5                                // 000000004574: 200A0A82
	s_mov_b32 s70, s53                                         // 000000004578: BEC60035
	v_lshrrev_b32_e32 v28, 4, v0                               // 00000000457C: 20380084
	v_mul_i32_i24_e32 v6, s70, v28                             // 000000004580: 0C0C3846
	v_lshrrev_b32_e32 v6, 2, v6                                // 000000004584: 200C0C82
	v_and_b32_e32 v28, 15, v0                                  // 000000004588: 2638008F
	v_lshlrev_b32_e32 v29, 2, v28                              // 00000000458C: 243A3882
	v_add_u32_e32 v6, v29, v6                                  // 000000004590: 680C0D1D
	s_mul_i32 s60, 16, s70                                     // 000000004594: 923C4690
	s_mul_i32 s60, s46, s60                                    // 000000004598: 923C3C2E
	v_lshlrev_b32_e32 v6, 2, v6                                // 00000000459C: 240C0C82
	v_add_u32_e32 v6, s60, v6                                  // 0000000045A0: 680C0C3C
	s_mul_i32 s60, s53, s83                                    // 0000000045A4: 923C5335
	v_add_u32_e32 v6, s60, v6                                  // 0000000045A8: 680C0C3C
	v_lshrrev_b32_e32 v6, 2, v6                                // 0000000045AC: 200C0C82
	s_cmp_ge_i32 s59, s85                                      // 0000000045B0: BF03553B
	s_cselect_b32 s59, s85, s59                                // 0000000045B4: 853B3B55
	s_add_u32 s73, 16, s59                                     // 0000000045B8: 80493B90
	s_mul_i32 s55, s5, s59                                     // 0000000045BC: 92373B05
	s_sub_i32 s61, s85, s59                                    // 0000000045C0: 81BD3B55
	s_mul_i32 s62, s5, s61                                     // 0000000045C4: 923E3D05
	s_lshr_b32 s62, s62, 2                                     // 0000000045C8: 8F3E823E
	s_mov_b32 s10, s62                                         // 0000000045CC: BE8A003E
	s_add_u32 s8, s55, s90                                     // 0000000045D0: 80085A37
	s_addc_u32 s9, 0, s91                                      // 0000000045D4: 82095B80
	s_mul_i32 s56, s51, s59                                    // 0000000045D8: 92383B33
	s_mul_i32 s62, s51, s61                                    // 0000000045DC: 923E3D33
	s_lshr_b32 s62, s62, 2                                     // 0000000045E0: 8F3E823E
	s_mov_b32 s22, s62                                         // 0000000045E4: BE96003E
	s_add_u32 s20, s56, s98                                    // 0000000045E8: 80146238
	s_addc_u32 s21, 0, s99                                     // 0000000045EC: 82156380
	s_mul_i32 s65, s59, 4                                      // 0000000045F0: 9241843B
	v_and_b32_e32 v9, 15, v0                                   // 0000000045F4: 2612008F
	v_lshlrev_b32_e32 v9, 2, v9                                // 0000000045F8: 24121282
	v_add_u32_e32 v9, s65, v9                                  // 0000000045FC: 68121241
	v_lshrrev_b32_e32 v9, 2, v9                                // 000000004600: 20121282
	v_lshrrev_b32_e32 v28, 5, v0                               // 000000004604: 20380085
	v_mul_i32_i24_e64 v29, s50, 2                              // 000000004608: D106001D 00010432
	v_mul_i32_i24_e32 v7, v29, v28                             // 000000004610: 0C0E391D
	v_and_b32_e32 v28, 31, v0                                  // 000000004614: 2638009F
	v_add_u32_e32 v7, v28, v7                                  // 000000004618: 680E0F1C
	s_mul_i32 s60, 4, s50                                      // 00000000461C: 923C3284
	s_mul_i32 s60, s46, s60                                    // 000000004620: 923C3C2E
	v_add_u32_e32 v7, s60, v7                                  // 000000004624: 680E0E3C
	v_lshlrev_b32_e32 v7, 2, v7                                // 000000004628: 240E0E82
	v_mul_i32_i24_e32 v29, 2, v29                              // 00000000462C: 0C3A3A82
	v_add_u32_e32 v8, v29, v7                                  // 000000004630: 68100F1D
	s_mul_i32 s60, s50, s65                                    // 000000004634: 923C4132
	v_add_u32_e32 v7, s60, v7                                  // 000000004638: 680E0E3C
	v_add_u32_e32 v8, s60, v8                                  // 00000000463C: 6810103C
	s_mul_i32 s60, 3, s2                                       // 000000004640: 923C0283
	s_add_u32 s61, s87, 63                                     // 000000004644: 803DBF57
	s_lshr_b32 s61, s61, 6                                     // 000000004648: 8F3D863D
	s_sub_i32 s72, s61, s60                                    // 00000000464C: 81C83C3D
	s_cmp_lt_i32 s72, 3                                        // 000000004650: BF048348
	s_cselect_b32 s72, s72, 3                                  // 000000004654: 85488348
	s_mul_i32 s60, 0xc0, s2                                    // 000000004658: 923C02FF 000000C0
	s_sub_i32 s84, s87, s60                                    // 000000004660: 81D43C57
	v_and_b32_e32 v28, 31, v0                                  // 000000004664: 2638009F
	v_lshrrev_b32_e32 v28, 1, v28                              // 000000004668: 20383881
	v_and_b32_e32 v29, 1, v28                                  // 00000000466C: 263A3881
	v_lshlrev_b32_e32 v29, 4, v29                              // 000000004670: 243A3A84
	v_and_b32_e32 v30, 2, v28                                  // 000000004674: 263C3882
	v_lshlrev_b32_e32 v30, 2, v30                              // 000000004678: 243C3C82
	v_add_u32_e32 v29, v30, v29                                // 00000000467C: 683A3B1E
	v_and_b32_e32 v30, 12, v28                                 // 000000004680: 263C388C
	v_lshrrev_b32_e32 v30, 1, v30                              // 000000004684: 203C3C81
	v_add_u32_e32 v29, v30, v29                                // 000000004688: 683A3B1E
	v_lshrrev_b32_e32 v28, 5, v0                               // 00000000468C: 20380085
	v_mul_i32_i24_e32 v30, 0x80, v28                           // 000000004690: 0C3C38FF 00000080
	v_add_u32_e32 v29, v30, v29                                // 000000004698: 683A3B1E
	v_and_b32_e32 v30, 1, v0                                   // 00000000469C: 263C0081
	v_add_u32_e32 v11, v30, v29                                // 0000000046A0: 68163B1E
	s_and_b32 s60, 1, s46                                      // 0000000046A4: 863C2E81
	s_mul_i32 s60, s60, 64                                     // 0000000046A8: 923CC03C
	s_lshr_b32 s61, s46, 1                                     // 0000000046AC: 8F3D812E
	s_mul_i32 s61, s61, 0x220                                  // 0000000046B0: 923DFF3D 00000220
	s_add_u32 s60, s60, s61                                    // 0000000046B8: 803C3D3C
	v_add_u32_e32 v11, s60, v11                                // 0000000046BC: 6816163C
	v_lshlrev_b32_e32 v11, 2, v11                              // 0000000046C0: 24161682
	v_lshrrev_b32_e32 v28, 4, v0                               // 0000000046C4: 20380084
	v_and_b32_e32 v29, 1, v28                                  // 0000000046C8: 263A3881
	v_lshlrev_b32_e32 v29, 4, v29                              // 0000000046CC: 243A3A84
	v_and_b32_e32 v30, 2, v28                                  // 0000000046D0: 263C3882
	v_mul_i32_i24_e32 v30, 4, v30                              // 0000000046D4: 0C3C3C84
	v_add_u32_e32 v29, v30, v29                                // 0000000046D8: 683A3B1E
	v_and_b32_e32 v28, 15, v0                                  // 0000000046DC: 2638008F
	v_lshrrev_b32_e32 v30, 2, v28                              // 0000000046E0: 203C3882
	v_lshlrev_b32_e32 v30, 5, v30                              // 0000000046E4: 243C3C85
	v_add_u32_e32 v29, v30, v29                                // 0000000046E8: 683A3B1E
	v_and_b32_e32 v28, 3, v0                                   // 0000000046EC: 26380083
	v_and_b32_e32 v30, 1, v28                                  // 0000000046F0: 263C3881
	v_mul_i32_i24_e32 v30, 0x108, v30                          // 0000000046F4: 0C3C3CFF 00000108
	v_add_u32_e32 v29, v30, v29                                // 0000000046FC: 683A3B1E
	v_and_b32_e32 v30, 2, v28                                  // 000000004700: 263C3882
	v_lshlrev_b32_e32 v30, 1, v30                              // 000000004704: 243C3C81
	v_add_u32_e32 v10, v30, v29                                // 000000004708: 68143B1E
	v_lshlrev_b32_e32 v10, 2, v10                              // 00000000470C: 24141482
	s_mul_i32 s60, s46, 0x1100                                 // 000000004710: 923CFF2E 00001100
	v_add_u32_e32 v22, s60, v10                                // 000000004718: 682C143C
	v_lshrrev_b32_e32 v28, 5, v0                               // 00000000471C: 20380085
	v_mul_i32_i24_e32 v13, 0x80, v28                           // 000000004720: 0C1A38FF 00000080
	v_and_b32_e32 v28, 31, v0                                  // 000000004728: 2638009F
	v_and_b32_e32 v29, 7, v28                                  // 00000000472C: 263A3887
	v_and_b32_e32 v30, 1, v29                                  // 000000004730: 263C3A81
	v_lshlrev_b32_e32 v30, 2, v30                              // 000000004734: 243C3C82
	v_add_u32_e32 v13, v30, v13                                // 000000004738: 681A1B1E
	v_and_b32_e32 v30, 2, v29                                  // 00000000473C: 263C3A82
	v_lshlrev_b32_e32 v30, 3, v30                              // 000000004740: 243C3C83
	v_add_u32_e32 v13, v30, v13                                // 000000004744: 681A1B1E
	v_and_b32_e32 v30, 4, v29                                  // 000000004748: 263C3A84
	v_lshlrev_b32_e32 v30, 1, v30                              // 00000000474C: 243C3C81
	v_add_u32_e32 v13, v30, v13                                // 000000004750: 681A1B1E
	v_lshrrev_b32_e32 v29, 3, v28                              // 000000004754: 203A3883
	v_and_b32_e32 v30, 1, v29                                  // 000000004758: 263C3A81
	v_lshlrev_b32_e32 v30, 1, v30                              // 00000000475C: 243C3C81
	v_add_u32_e32 v13, v30, v13                                // 000000004760: 681A1B1E
	v_and_b32_e32 v30, 2, v29                                  // 000000004764: 263C3A82
	v_lshrrev_b32_e32 v30, 1, v30                              // 000000004768: 203C3C81
	v_add_u32_e32 v13, v30, v13                                // 00000000476C: 681A1B1E
	s_and_b32 s60, 1, s46                                      // 000000004770: 863C2E81
	s_mul_i32 s60, s60, 64                                     // 000000004774: 923CC03C
	s_lshr_b32 s61, s46, 1                                     // 000000004778: 8F3D812E
	s_mul_i32 s61, s61, 0x220                                  // 00000000477C: 923DFF3D 00000220
	s_add_u32 s60, s60, s61                                    // 000000004784: 803C3D3C
	v_add_u32_e32 v13, s60, v13                                // 000000004788: 681A1A3C
	v_lshlrev_b32_e32 v13, 2, v13                              // 00000000478C: 241A1A82
	v_and_b32_e32 v28, 15, v0                                  // 000000004790: 2638008F
	v_and_b32_e32 v30, 1, v28                                  // 000000004794: 263C3881
	v_mul_i32_i24_e32 v12, 0x108, v30                          // 000000004798: 0C183CFF 00000108
	v_and_b32_e32 v30, 2, v28                                  // 0000000047A0: 263C3882
	v_lshlrev_b32_e32 v30, 1, v30                              // 0000000047A4: 243C3C81
	v_add_u32_e32 v12, v30, v12                                // 0000000047A8: 6818191E
	v_and_b32_e32 v30, 4, v28                                  // 0000000047AC: 263C3884
	v_lshlrev_b32_e32 v30, 2, v30                              // 0000000047B0: 243C3C82
	v_add_u32_e32 v12, v30, v12                                // 0000000047B4: 6818191E
	v_and_b32_e32 v30, 8, v28                                  // 0000000047B8: 263C3888
	v_add_u32_e32 v12, v30, v12                                // 0000000047BC: 6818191E
	v_lshrrev_b32_e32 v28, 4, v0                               // 0000000047C0: 20380084
	v_and_b32_e32 v30, 1, v28                                  // 0000000047C4: 263C3881
	v_lshlrev_b32_e32 v30, 5, v30                              // 0000000047C8: 243C3C85
	v_add_u32_e32 v12, v30, v12                                // 0000000047CC: 6818191E
	v_and_b32_e32 v29, 2, v28                                  // 0000000047D0: 263A3882
	v_mul_i32_i24_e32 v30, 32, v29                             // 0000000047D4: 0C3C3AA0
	v_mul_i32_i24_e32 v29, 0x220, v29                          // 0000000047D8: 0C3A3AFF 00000220
	v_add_u32_e32 v23, v29, v12                                // 0000000047E0: 682E191D
	v_add_u32_e32 v12, v30, v12                                // 0000000047E4: 6818191E
	v_lshlrev_b32_e32 v12, 2, v12                              // 0000000047E8: 24181882
	v_lshlrev_b32_e32 v23, 2, v23                              // 0000000047EC: 242E2E82
	s_and_b32 s60, 1, s46                                      // 0000000047F0: 863C2E81
	s_mul_i32 s60, s60, 0x200                                  // 0000000047F4: 923CFF3C 00000200
	s_lshr_b32 s61, s46, 1                                     // 0000000047FC: 8F3D812E
	s_mul_i32 s61, s61, 0x880                                  // 000000004800: 923DFF3D 00000880
	s_add_u32 s60, s60, s61                                    // 000000004808: 803C3D3C
	v_add_u32_e32 v23, s60, v23                                // 00000000480C: 682E2E3C
	v_lshrrev_b32_e32 v28, 4, v0                               // 000000004810: 20380084
	v_mul_i32_i24_e32 v21, 4, v28                              // 000000004814: 0C2A3884
	v_and_b32_e32 v29, 3, v0                                   // 000000004818: 263A0083
	v_add_u32_e32 v21, v29, v21                                // 00000000481C: 682A2B1D
	v_lshlrev_b32_e32 v21, 2, v21                              // 000000004820: 242A2A82
	v_lshrrev_b32_e32 v28, 4, v0                               // 000000004824: 20380084
	v_and_b32_e32 v29, 1, v28                                  // 000000004828: 263A3881
	v_mul_i32_i24_e32 v19, 0x100, v29                          // 00000000482C: 0C263AFF 00000100
	v_and_b32_e32 v29, 2, v28                                  // 000000004834: 263A3882
	v_mul_i32_i24_e32 v29, 64, v29                             // 000000004838: 0C3A3AC0
	v_add_u32_e32 v19, v29, v19                                // 00000000483C: 6826271D
	v_and_b32_e32 v28, 15, v0                                  // 000000004840: 2638008F
	v_mul_i32_i24_e32 v29, 2, v28                              // 000000004844: 0C3A3882
	v_add_u32_e32 v19, v29, v19                                // 000000004848: 6826271D
	s_mul_i32 s60, s46, 32                                     // 00000000484C: 923CA02E
	v_add_u32_e32 v19, s60, v19                                // 000000004850: 6826263C
	v_lshlrev_b32_e32 v19, 2, v19                              // 000000004854: 24262682
	v_lshlrev_b32_e32 v20, 1, v0                               // 000000004858: 24280081
	s_mul_i32 s60, s46, 0x200                                  // 00000000485C: 923CFF2E 00000200
	v_add_u32_e32 v20, s60, v20                                // 000000004864: 6828283C
	v_lshlrev_b32_e32 v20, 2, v20                              // 000000004868: 24282882
	v_lshrrev_b32_e32 v28, 5, v0                               // 00000000486C: 20380085
	v_mul_i32_i24_e32 v17, 64, v28                             // 000000004870: 0C2238C0
	v_and_b32_e32 v28, 31, v0                                  // 000000004874: 2638009F
	v_and_b32_e32 v28, 3, v28                                  // 000000004878: 26383883
	v_and_b32_e32 v29, 1, v28                                  // 00000000487C: 263A3881
	v_mul_i32_i24_e32 v29, 4, v29                              // 000000004880: 0C3A3A84
	v_add_u32_e32 v17, v29, v17                                // 000000004884: 6822231D
	v_and_b32_e32 v29, 2, v28                                  // 000000004888: 263A3882
	v_mul_i32_i24_e32 v29, 0x44, v29                           // 00000000488C: 0C3A3AFF 00000044
	v_add_u32_e32 v17, v29, v17                                // 000000004894: 6822231D
	v_and_b32_e32 v28, 31, v0                                  // 000000004898: 2638009F
	v_lshrrev_b32_e32 v28, 2, v28                              // 00000000489C: 20383882
	v_lshrrev_b32_e32 v30, 2, v28                              // 0000000048A0: 203C3882
	v_mul_i32_i24_e32 v29, 16, v30                             // 0000000048A4: 0C3A3C90
	v_add_u32_e32 v17, v29, v17                                // 0000000048A8: 6822231D
	v_and_b32_e32 v29, 2, v28                                  // 0000000048AC: 263A3882
	v_lshlrev_b32_e32 v29, 4, v29                              // 0000000048B0: 243A3A84
	v_add_u32_e32 v17, v29, v17                                // 0000000048B4: 6822231D
	v_and_b32_e32 v29, 1, v28                                  // 0000000048B8: 263A3881
	v_xor_b32_e32 v29, v30, v29                                // 0000000048BC: 2A3A3B1E
	v_mul_i32_i24_e32 v29, 8, v29                              // 0000000048C0: 0C3A3A88
	v_add_u32_e32 v17, v29, v17                                // 0000000048C4: 6822231D
	v_lshlrev_b32_e32 v17, 2, v17                              // 0000000048C8: 24222282
	v_lshrrev_b32_e32 v28, 5, v0                               // 0000000048CC: 20380085
	v_mul_i32_i24_e32 v18, 32, v28                             // 0000000048D0: 0C2438A0
	v_and_b32_e32 v28, 31, v0                                  // 0000000048D4: 2638009F
	v_and_b32_e32 v28, 3, v28                                  // 0000000048D8: 26383883
	v_and_b32_e32 v29, 1, v28                                  // 0000000048DC: 263A3881
	v_mul_i32_i24_e32 v29, 4, v29                              // 0000000048E0: 0C3A3A84
	v_add_u32_e32 v18, v29, v18                                // 0000000048E4: 6824251D
	v_and_b32_e32 v29, 2, v28                                  // 0000000048E8: 263A3882
	v_lshrrev_b32_e32 v29, 1, v29                              // 0000000048EC: 203A3A81
	v_add_u32_e32 v18, v29, v18                                // 0000000048F0: 6824251D
	v_and_b32_e32 v28, 31, v0                                  // 0000000048F4: 2638009F
	v_lshrrev_b32_e32 v28, 2, v28                              // 0000000048F8: 20383882
	v_and_b32_e32 v30, 1, v28                                  // 0000000048FC: 263C3881
	v_mul_i32_i24_e32 v29, 16, v30                             // 000000004900: 0C3A3C90
	v_add_u32_e32 v18, v29, v18                                // 000000004904: 6824251D
	v_and_b32_e32 v29, 2, v28                                  // 000000004908: 263A3882
	v_add_u32_e32 v18, v29, v18                                // 00000000490C: 6824251D
	v_lshrrev_b32_e32 v29, 2, v28                              // 000000004910: 203A3882
	v_xor_b32_e32 v29, v30, v29                                // 000000004914: 2A3A3B1E
	v_mul_i32_i24_e32 v29, 8, v29                              // 000000004918: 0C3A3A88
	v_add_u32_e32 v18, v29, v18                                // 00000000491C: 6824251D
	s_and_b32 s60, 1, s46                                      // 000000004920: 863C2E81
	s_mul_i32 s60, s60, 64                                     // 000000004924: 923CC03C
	s_lshr_b32 s61, s46, 1                                     // 000000004928: 8F3D812E
	s_mul_i32 s61, s61, 0x120                                  // 00000000492C: 923DFF3D 00000120
	s_add_u32 s60, s60, s61                                    // 000000004934: 803C3D3C
	v_add_u32_e32 v18, s60, v18                                // 000000004938: 6824243C
	v_lshlrev_b32_e32 v18, 2, v18                              // 00000000493C: 24242482
	v_mov_b32_e32 v152, 0                                      // 000000004940: 7F300280
	s_mov_b64 exec, s[80:81]                                   // 000000004944: BEFE0150
	buffer_load_dword v152, v1, s[12:15], 0 idxen              // 000000004948: E0502000 80039801
	s_mov_b32 exec_lo, -1                                      // 000000004950: BEFE00C1
	s_mov_b32 exec_hi, -1                                      // 000000004954: BEFF00C1
	v_mov_b32_e32 v153, 0                                      // 000000004958: 7F320280
	s_mov_b64 exec, s[80:81]                                   // 00000000495C: BEFE0150
	buffer_load_dword v153, v2, s[12:15], 0 idxen              // 000000004960: E0502000 80039902
	s_mov_b32 exec_lo, -1                                      // 000000004968: BEFE00C1
	s_mov_b32 exec_hi, -1                                      // 00000000496C: BEFF00C1
	v_mov_b32_e32 v154, 0                                      // 000000004970: 7F340280
	s_mov_b64 exec, s[80:81]                                   // 000000004974: BEFE0150
	buffer_load_dword v154, v3, s[12:15], 0 idxen              // 000000004978: E0502000 80039A03
	s_mov_b32 exec_lo, -1                                      // 000000004980: BEFE00C1
	s_mov_b32 exec_hi, -1                                      // 000000004984: BEFF00C1
	v_mov_b32_e32 v155, 0                                      // 000000004988: 7F360280
	s_mov_b64 exec, s[80:81]                                   // 00000000498C: BEFE0150
	buffer_load_dword v155, v4, s[12:15], 0 idxen              // 000000004990: E0502000 80039B04
	s_mov_b32 exec_lo, -1                                      // 000000004998: BEFE00C1
	s_mov_b32 exec_hi, -1                                      // 00000000499C: BEFF00C1
	s_mul_i32 s60, 4, s6                                       // 0000000049A0: 923C0684
	s_cmp_lt_i32 0, s72                                        // 0000000049A4: BF044880
	s_cselect_b32 s60, s60, 0                                  // 0000000049A8: 853C803C
	v_add_u32_e32 v1, s60, v1                                  // 0000000049AC: 6802023C
	v_add_u32_e32 v2, s60, v2                                  // 0000000049B0: 6804043C
	v_add_u32_e32 v3, s60, v3                                  // 0000000049B4: 6806063C
	v_add_u32_e32 v4, s60, v4                                  // 0000000049B8: 6808083C
	v_mov_b32_e32 v156, 0                                      // 0000000049BC: 7F380280
	s_mov_b64 exec, s[80:81]                                   // 0000000049C0: BEFE0150
	buffer_load_dword v156, v1, s[12:15], 0 idxen              // 0000000049C4: E0502000 80039C01
	s_mov_b32 exec_lo, -1                                      // 0000000049CC: BEFE00C1
	s_mov_b32 exec_hi, -1                                      // 0000000049D0: BEFF00C1
	v_mov_b32_e32 v157, 0                                      // 0000000049D4: 7F3A0280
	s_mov_b64 exec, s[80:81]                                   // 0000000049D8: BEFE0150
	buffer_load_dword v157, v2, s[12:15], 0 idxen              // 0000000049DC: E0502000 80039D02
	s_mov_b32 exec_lo, -1                                      // 0000000049E4: BEFE00C1
	s_mov_b32 exec_hi, -1                                      // 0000000049E8: BEFF00C1
	v_mov_b32_e32 v158, 0                                      // 0000000049EC: 7F3C0280
	s_mov_b64 exec, s[80:81]                                   // 0000000049F0: BEFE0150
	buffer_load_dword v158, v3, s[12:15], 0 idxen              // 0000000049F4: E0502000 80039E03
	s_mov_b32 exec_lo, -1                                      // 0000000049FC: BEFE00C1
	s_mov_b32 exec_hi, -1                                      // 000000004A00: BEFF00C1
	v_mov_b32_e32 v159, 0                                      // 000000004A04: 7F3E0280
	s_mov_b64 exec, s[80:81]                                   // 000000004A08: BEFE0150
	buffer_load_dword v159, v4, s[12:15], 0 idxen              // 000000004A0C: E0502000 80039F04
	s_mov_b32 exec_lo, -1                                      // 000000004A14: BEFE00C1
	s_mov_b32 exec_hi, -1                                      // 000000004A18: BEFF00C1
	s_mul_i32 s60, 4, s6                                       // 000000004A1C: 923C0684
	s_cmp_lt_i32 0, s72                                        // 000000004A20: BF044880
	s_cselect_b32 s60, s60, 0                                  // 000000004A24: 853C803C
	v_add_u32_e32 v1, s60, v1                                  // 000000004A28: 6802023C
	v_add_u32_e32 v2, s60, v2                                  // 000000004A2C: 6804043C
	v_add_u32_e32 v3, s60, v3                                  // 000000004A30: 6806063C
	v_add_u32_e32 v4, s60, v4                                  // 000000004A34: 6808083C
	v_mov_b32_e32 v160, 0                                      // 000000004A38: 7F400280
	s_mov_b64 exec, s[80:81]                                   // 000000004A3C: BEFE0150
	buffer_load_dword v160, v1, s[12:15], 0 idxen              // 000000004A40: E0502000 8003A001
	s_mov_b32 exec_lo, -1                                      // 000000004A48: BEFE00C1
	s_mov_b32 exec_hi, -1                                      // 000000004A4C: BEFF00C1
	v_mov_b32_e32 v161, 0                                      // 000000004A50: 7F420280
	s_mov_b64 exec, s[80:81]                                   // 000000004A54: BEFE0150
	buffer_load_dword v161, v2, s[12:15], 0 idxen              // 000000004A58: E0502000 8003A102
	s_mov_b32 exec_lo, -1                                      // 000000004A60: BEFE00C1
	s_mov_b32 exec_hi, -1                                      // 000000004A64: BEFF00C1
	v_mov_b32_e32 v162, 0                                      // 000000004A68: 7F440280
	s_mov_b64 exec, s[80:81]                                   // 000000004A6C: BEFE0150
	buffer_load_dword v162, v3, s[12:15], 0 idxen              // 000000004A70: E0502000 8003A203
	s_mov_b32 exec_lo, -1                                      // 000000004A78: BEFE00C1
	s_mov_b32 exec_hi, -1                                      // 000000004A7C: BEFF00C1
	v_mov_b32_e32 v163, 0                                      // 000000004A80: 7F460280
	s_mov_b64 exec, s[80:81]                                   // 000000004A84: BEFE0150
	buffer_load_dword v163, v4, s[12:15], 0 idxen              // 000000004A88: E0502000 8003A304
	s_mov_b32 exec_lo, -1                                      // 000000004A90: BEFE00C1
	s_mov_b32 exec_hi, -1                                      // 000000004A94: BEFF00C1
	s_mul_i32 s60, 4, s6                                       // 000000004A98: 923C0684
	s_cmp_lt_i32 0, s72                                        // 000000004A9C: BF044880
	s_cselect_b32 s60, s60, 0                                  // 000000004AA0: 853C803C
	v_add_u32_e32 v1, s60, v1                                  // 000000004AA4: 6802023C
	v_add_u32_e32 v2, s60, v2                                  // 000000004AA8: 6804043C
	v_add_u32_e32 v3, s60, v3                                  // 000000004AAC: 6806063C
	v_add_u32_e32 v4, s60, v4                                  // 000000004AB0: 6808083C
	v_mov_b32_e32 v164, 0                                      // 000000004AB4: 7F480280
	s_mov_b64 exec, s[80:81]                                   // 000000004AB8: BEFE0150
	buffer_load_dword v164, v1, s[12:15], 0 idxen              // 000000004ABC: E0502000 8003A401
	s_mov_b32 exec_lo, -1                                      // 000000004AC4: BEFE00C1
	s_mov_b32 exec_hi, -1                                      // 000000004AC8: BEFF00C1
	v_mov_b32_e32 v165, 0                                      // 000000004ACC: 7F4A0280
	s_mov_b64 exec, s[80:81]                                   // 000000004AD0: BEFE0150
	buffer_load_dword v165, v2, s[12:15], 0 idxen              // 000000004AD4: E0502000 8003A502
	s_mov_b32 exec_lo, -1                                      // 000000004ADC: BEFE00C1
	s_mov_b32 exec_hi, -1                                      // 000000004AE0: BEFF00C1
	v_mov_b32_e32 v166, 0                                      // 000000004AE4: 7F4C0280
	s_mov_b64 exec, s[80:81]                                   // 000000004AE8: BEFE0150
	buffer_load_dword v166, v3, s[12:15], 0 idxen              // 000000004AEC: E0502000 8003A603
	s_mov_b32 exec_lo, -1                                      // 000000004AF4: BEFE00C1
	s_mov_b32 exec_hi, -1                                      // 000000004AF8: BEFF00C1
	v_mov_b32_e32 v167, 0                                      // 000000004AFC: 7F4E0280
	s_mov_b64 exec, s[80:81]                                   // 000000004B00: BEFE0150
	buffer_load_dword v167, v4, s[12:15], 0 idxen              // 000000004B04: E0502000 8003A704
	s_mov_b32 exec_lo, -1                                      // 000000004B0C: BEFE00C1
	s_mov_b32 exec_hi, -1                                      // 000000004B10: BEFF00C1
	s_mul_i32 s60, 4, s6                                       // 000000004B14: 923C0684
	s_cmp_lt_i32 1, s72                                        // 000000004B18: BF044881
	s_cselect_b32 s60, s60, 0                                  // 000000004B1C: 853C803C
	v_add_u32_e32 v1, s60, v1                                  // 000000004B20: 6802023C
	v_add_u32_e32 v2, s60, v2                                  // 000000004B24: 6804043C
	v_add_u32_e32 v3, s60, v3                                  // 000000004B28: 6806063C
	v_add_u32_e32 v4, s60, v4                                  // 000000004B2C: 6808083C
	v_mov_b32_e32 v168, 0                                      // 000000004B30: 7F500280
	s_mov_b64 exec, s[80:81]                                   // 000000004B34: BEFE0150
	buffer_load_dword v168, v1, s[12:15], 0 idxen              // 000000004B38: E0502000 8003A801
	s_mov_b32 exec_lo, -1                                      // 000000004B40: BEFE00C1
	s_mov_b32 exec_hi, -1                                      // 000000004B44: BEFF00C1
	v_mov_b32_e32 v169, 0                                      // 000000004B48: 7F520280
	s_mov_b64 exec, s[80:81]                                   // 000000004B4C: BEFE0150
	buffer_load_dword v169, v2, s[12:15], 0 idxen              // 000000004B50: E0502000 8003A902
	s_mov_b32 exec_lo, -1                                      // 000000004B58: BEFE00C1
	s_mov_b32 exec_hi, -1                                      // 000000004B5C: BEFF00C1
	v_mov_b32_e32 v170, 0                                      // 000000004B60: 7F540280
	s_mov_b64 exec, s[80:81]                                   // 000000004B64: BEFE0150
	buffer_load_dword v170, v3, s[12:15], 0 idxen              // 000000004B68: E0502000 8003AA03
	s_mov_b32 exec_lo, -1                                      // 000000004B70: BEFE00C1
	s_mov_b32 exec_hi, -1                                      // 000000004B74: BEFF00C1
	v_mov_b32_e32 v171, 0                                      // 000000004B78: 7F560280
	s_mov_b64 exec, s[80:81]                                   // 000000004B7C: BEFE0150
	buffer_load_dword v171, v4, s[12:15], 0 idxen              // 000000004B80: E0502000 8003AB04
	s_mov_b32 exec_lo, -1                                      // 000000004B88: BEFE00C1
	s_mov_b32 exec_hi, -1                                      // 000000004B8C: BEFF00C1
	s_mul_i32 s60, 4, s6                                       // 000000004B90: 923C0684
	s_cmp_lt_i32 1, s72                                        // 000000004B94: BF044881
	s_cselect_b32 s60, s60, 0                                  // 000000004B98: 853C803C
	v_add_u32_e32 v1, s60, v1                                  // 000000004B9C: 6802023C
	v_add_u32_e32 v2, s60, v2                                  // 000000004BA0: 6804043C
	v_add_u32_e32 v3, s60, v3                                  // 000000004BA4: 6806063C
	v_add_u32_e32 v4, s60, v4                                  // 000000004BA8: 6808083C
	v_mov_b32_e32 v172, 0                                      // 000000004BAC: 7F580280
	s_mov_b64 exec, s[80:81]                                   // 000000004BB0: BEFE0150
	buffer_load_dword v172, v1, s[12:15], 0 idxen              // 000000004BB4: E0502000 8003AC01
	s_mov_b32 exec_lo, -1                                      // 000000004BBC: BEFE00C1
	s_mov_b32 exec_hi, -1                                      // 000000004BC0: BEFF00C1
	v_mov_b32_e32 v173, 0                                      // 000000004BC4: 7F5A0280
	s_mov_b64 exec, s[80:81]                                   // 000000004BC8: BEFE0150
	buffer_load_dword v173, v2, s[12:15], 0 idxen              // 000000004BCC: E0502000 8003AD02
	s_mov_b32 exec_lo, -1                                      // 000000004BD4: BEFE00C1
	s_mov_b32 exec_hi, -1                                      // 000000004BD8: BEFF00C1
	v_mov_b32_e32 v174, 0                                      // 000000004BDC: 7F5C0280
	s_mov_b64 exec, s[80:81]                                   // 000000004BE0: BEFE0150
	buffer_load_dword v174, v3, s[12:15], 0 idxen              // 000000004BE4: E0502000 8003AE03
	s_mov_b32 exec_lo, -1                                      // 000000004BEC: BEFE00C1
	s_mov_b32 exec_hi, -1                                      // 000000004BF0: BEFF00C1
	v_mov_b32_e32 v175, 0                                      // 000000004BF4: 7F5E0280
	s_mov_b64 exec, s[80:81]                                   // 000000004BF8: BEFE0150
	buffer_load_dword v175, v4, s[12:15], 0 idxen              // 000000004BFC: E0502000 8003AF04
	s_mov_b32 exec_lo, -1                                      // 000000004C04: BEFE00C1
	s_mov_b32 exec_hi, -1                                      // 000000004C08: BEFF00C1
	s_mul_i32 s60, 4, s6                                       // 000000004C0C: 923C0684
	s_cmp_lt_i32 1, s72                                        // 000000004C10: BF044881
	s_cselect_b32 s60, s60, 0                                  // 000000004C14: 853C803C
	v_add_u32_e32 v1, s60, v1                                  // 000000004C18: 6802023C
	v_add_u32_e32 v2, s60, v2                                  // 000000004C1C: 6804043C
	v_add_u32_e32 v3, s60, v3                                  // 000000004C20: 6806063C
	v_add_u32_e32 v4, s60, v4                                  // 000000004C24: 6808083C
	v_mov_b32_e32 v176, 0                                      // 000000004C28: 7F600280
	s_mov_b64 exec, s[80:81]                                   // 000000004C2C: BEFE0150
	buffer_load_dword v176, v1, s[12:15], 0 idxen              // 000000004C30: E0502000 8003B001
	s_mov_b32 exec_lo, -1                                      // 000000004C38: BEFE00C1
	s_mov_b32 exec_hi, -1                                      // 000000004C3C: BEFF00C1
	v_mov_b32_e32 v177, 0                                      // 000000004C40: 7F620280
	s_mov_b64 exec, s[80:81]                                   // 000000004C44: BEFE0150
	buffer_load_dword v177, v2, s[12:15], 0 idxen              // 000000004C48: E0502000 8003B102
	s_mov_b32 exec_lo, -1                                      // 000000004C50: BEFE00C1
	s_mov_b32 exec_hi, -1                                      // 000000004C54: BEFF00C1
	v_mov_b32_e32 v178, 0                                      // 000000004C58: 7F640280
	s_mov_b64 exec, s[80:81]                                   // 000000004C5C: BEFE0150
	buffer_load_dword v178, v3, s[12:15], 0 idxen              // 000000004C60: E0502000 8003B203
	s_mov_b32 exec_lo, -1                                      // 000000004C68: BEFE00C1
	s_mov_b32 exec_hi, -1                                      // 000000004C6C: BEFF00C1
	v_mov_b32_e32 v179, 0                                      // 000000004C70: 7F660280
	s_mov_b64 exec, s[80:81]                                   // 000000004C74: BEFE0150
	buffer_load_dword v179, v4, s[12:15], 0 idxen              // 000000004C78: E0502000 8003B304
	s_mov_b32 exec_lo, -1                                      // 000000004C80: BEFE00C1
	s_mov_b32 exec_hi, -1                                      // 000000004C84: BEFF00C1
	s_mul_i32 s60, 4, s6                                       // 000000004C88: 923C0684
	s_cmp_lt_i32 1, s72                                        // 000000004C8C: BF044881
	s_cselect_b32 s60, s60, 0                                  // 000000004C90: 853C803C
	v_add_u32_e32 v1, s60, v1                                  // 000000004C94: 6802023C
	v_add_u32_e32 v2, s60, v2                                  // 000000004C98: 6804043C
	v_add_u32_e32 v3, s60, v3                                  // 000000004C9C: 6806063C
	v_add_u32_e32 v4, s60, v4                                  // 000000004CA0: 6808083C
	v_mov_b32_e32 v180, 0                                      // 000000004CA4: 7F680280
	s_mov_b64 exec, s[80:81]                                   // 000000004CA8: BEFE0150
	buffer_load_dword v180, v1, s[12:15], 0 idxen              // 000000004CAC: E0502000 8003B401
	s_mov_b32 exec_lo, -1                                      // 000000004CB4: BEFE00C1
	s_mov_b32 exec_hi, -1                                      // 000000004CB8: BEFF00C1
	v_mov_b32_e32 v181, 0                                      // 000000004CBC: 7F6A0280
	s_mov_b64 exec, s[80:81]                                   // 000000004CC0: BEFE0150
	buffer_load_dword v181, v2, s[12:15], 0 idxen              // 000000004CC4: E0502000 8003B502
	s_mov_b32 exec_lo, -1                                      // 000000004CCC: BEFE00C1
	s_mov_b32 exec_hi, -1                                      // 000000004CD0: BEFF00C1
	v_mov_b32_e32 v182, 0                                      // 000000004CD4: 7F6C0280
	s_mov_b64 exec, s[80:81]                                   // 000000004CD8: BEFE0150
	buffer_load_dword v182, v3, s[12:15], 0 idxen              // 000000004CDC: E0502000 8003B603
	s_mov_b32 exec_lo, -1                                      // 000000004CE4: BEFE00C1
	s_mov_b32 exec_hi, -1                                      // 000000004CE8: BEFF00C1
	v_mov_b32_e32 v183, 0                                      // 000000004CEC: 7F6E0280
	s_mov_b64 exec, s[80:81]                                   // 000000004CF0: BEFE0150
	buffer_load_dword v183, v4, s[12:15], 0 idxen              // 000000004CF4: E0502000 8003B704
	s_mov_b32 exec_lo, -1                                      // 000000004CFC: BEFE00C1
	s_mov_b32 exec_hi, -1                                      // 000000004D00: BEFF00C1
	s_mul_i32 s60, 4, s6                                       // 000000004D04: 923C0684
	s_cmp_lt_i32 2, s72                                        // 000000004D08: BF044882
	s_cselect_b32 s60, s60, 0                                  // 000000004D0C: 853C803C
	v_add_u32_e32 v1, s60, v1                                  // 000000004D10: 6802023C
	v_add_u32_e32 v2, s60, v2                                  // 000000004D14: 6804043C
	v_add_u32_e32 v3, s60, v3                                  // 000000004D18: 6806063C
	v_add_u32_e32 v4, s60, v4                                  // 000000004D1C: 6808083C
	v_mov_b32_e32 v184, 0                                      // 000000004D20: 7F700280
	s_mov_b64 exec, s[80:81]                                   // 000000004D24: BEFE0150
	buffer_load_dword v184, v1, s[12:15], 0 idxen              // 000000004D28: E0502000 8003B801
	s_mov_b32 exec_lo, -1                                      // 000000004D30: BEFE00C1
	s_mov_b32 exec_hi, -1                                      // 000000004D34: BEFF00C1
	v_mov_b32_e32 v185, 0                                      // 000000004D38: 7F720280
	s_mov_b64 exec, s[80:81]                                   // 000000004D3C: BEFE0150
	buffer_load_dword v185, v2, s[12:15], 0 idxen              // 000000004D40: E0502000 8003B902
	s_mov_b32 exec_lo, -1                                      // 000000004D48: BEFE00C1
	s_mov_b32 exec_hi, -1                                      // 000000004D4C: BEFF00C1
	v_mov_b32_e32 v186, 0                                      // 000000004D50: 7F740280
	s_mov_b64 exec, s[80:81]                                   // 000000004D54: BEFE0150
	buffer_load_dword v186, v3, s[12:15], 0 idxen              // 000000004D58: E0502000 8003BA03
	s_mov_b32 exec_lo, -1                                      // 000000004D60: BEFE00C1
	s_mov_b32 exec_hi, -1                                      // 000000004D64: BEFF00C1
	v_mov_b32_e32 v187, 0                                      // 000000004D68: 7F760280
	s_mov_b64 exec, s[80:81]                                   // 000000004D6C: BEFE0150
	buffer_load_dword v187, v4, s[12:15], 0 idxen              // 000000004D70: E0502000 8003BB04
	s_mov_b32 exec_lo, -1                                      // 000000004D78: BEFE00C1
	s_mov_b32 exec_hi, -1                                      // 000000004D7C: BEFF00C1
	s_mul_i32 s60, 4, s6                                       // 000000004D80: 923C0684
	s_cmp_lt_i32 2, s72                                        // 000000004D84: BF044882
	s_cselect_b32 s60, s60, 0                                  // 000000004D88: 853C803C
	v_add_u32_e32 v1, s60, v1                                  // 000000004D8C: 6802023C
	v_add_u32_e32 v2, s60, v2                                  // 000000004D90: 6804043C
	v_add_u32_e32 v3, s60, v3                                  // 000000004D94: 6806063C
	v_add_u32_e32 v4, s60, v4                                  // 000000004D98: 6808083C
	v_mov_b32_e32 v188, 0                                      // 000000004D9C: 7F780280
	s_mov_b64 exec, s[80:81]                                   // 000000004DA0: BEFE0150
	buffer_load_dword v188, v1, s[12:15], 0 idxen              // 000000004DA4: E0502000 8003BC01
	s_mov_b32 exec_lo, -1                                      // 000000004DAC: BEFE00C1
	s_mov_b32 exec_hi, -1                                      // 000000004DB0: BEFF00C1
	v_mov_b32_e32 v189, 0                                      // 000000004DB4: 7F7A0280
	s_mov_b64 exec, s[80:81]                                   // 000000004DB8: BEFE0150
	buffer_load_dword v189, v2, s[12:15], 0 idxen              // 000000004DBC: E0502000 8003BD02
	s_mov_b32 exec_lo, -1                                      // 000000004DC4: BEFE00C1
	s_mov_b32 exec_hi, -1                                      // 000000004DC8: BEFF00C1
	v_mov_b32_e32 v190, 0                                      // 000000004DCC: 7F7C0280
	s_mov_b64 exec, s[80:81]                                   // 000000004DD0: BEFE0150
	buffer_load_dword v190, v3, s[12:15], 0 idxen              // 000000004DD4: E0502000 8003BE03
	s_mov_b32 exec_lo, -1                                      // 000000004DDC: BEFE00C1
	s_mov_b32 exec_hi, -1                                      // 000000004DE0: BEFF00C1
	v_mov_b32_e32 v191, 0                                      // 000000004DE4: 7F7E0280
	s_mov_b64 exec, s[80:81]                                   // 000000004DE8: BEFE0150
	buffer_load_dword v191, v4, s[12:15], 0 idxen              // 000000004DEC: E0502000 8003BF04
	s_mov_b32 exec_lo, -1                                      // 000000004DF4: BEFE00C1
	s_mov_b32 exec_hi, -1                                      // 000000004DF8: BEFF00C1
	s_mul_i32 s60, 4, s6                                       // 000000004DFC: 923C0684
	s_cmp_lt_i32 2, s72                                        // 000000004E00: BF044882
	s_cselect_b32 s60, s60, 0                                  // 000000004E04: 853C803C
	v_add_u32_e32 v1, s60, v1                                  // 000000004E08: 6802023C
	v_add_u32_e32 v2, s60, v2                                  // 000000004E0C: 6804043C
	v_add_u32_e32 v3, s60, v3                                  // 000000004E10: 6806063C
	v_add_u32_e32 v4, s60, v4                                  // 000000004E14: 6808083C
	v_mov_b32_e32 v192, 0                                      // 000000004E18: 7F800280
	s_mov_b64 exec, s[80:81]                                   // 000000004E1C: BEFE0150
	buffer_load_dword v192, v1, s[12:15], 0 idxen              // 000000004E20: E0502000 8003C001
	s_mov_b32 exec_lo, -1                                      // 000000004E28: BEFE00C1
	s_mov_b32 exec_hi, -1                                      // 000000004E2C: BEFF00C1
	v_mov_b32_e32 v193, 0                                      // 000000004E30: 7F820280
	s_mov_b64 exec, s[80:81]                                   // 000000004E34: BEFE0150
	buffer_load_dword v193, v2, s[12:15], 0 idxen              // 000000004E38: E0502000 8003C102
	s_mov_b32 exec_lo, -1                                      // 000000004E40: BEFE00C1
	s_mov_b32 exec_hi, -1                                      // 000000004E44: BEFF00C1
	v_mov_b32_e32 v194, 0                                      // 000000004E48: 7F840280
	s_mov_b64 exec, s[80:81]                                   // 000000004E4C: BEFE0150
	buffer_load_dword v194, v3, s[12:15], 0 idxen              // 000000004E50: E0502000 8003C203
	s_mov_b32 exec_lo, -1                                      // 000000004E58: BEFE00C1
	s_mov_b32 exec_hi, -1                                      // 000000004E5C: BEFF00C1
	v_mov_b32_e32 v195, 0                                      // 000000004E60: 7F860280
	s_mov_b64 exec, s[80:81]                                   // 000000004E64: BEFE0150
	buffer_load_dword v195, v4, s[12:15], 0 idxen              // 000000004E68: E0502000 8003C304
	s_mov_b32 exec_lo, -1                                      // 000000004E70: BEFE00C1
	s_mov_b32 exec_hi, -1                                      // 000000004E74: BEFF00C1
	s_mul_i32 s60, 4, s6                                       // 000000004E78: 923C0684
	s_cmp_lt_i32 2, s72                                        // 000000004E7C: BF044882
	s_cselect_b32 s60, s60, 0                                  // 000000004E80: 853C803C
	v_add_u32_e32 v1, s60, v1                                  // 000000004E84: 6802023C
	v_add_u32_e32 v2, s60, v2                                  // 000000004E88: 6804043C
	v_add_u32_e32 v3, s60, v3                                  // 000000004E8C: 6806063C
	v_add_u32_e32 v4, s60, v4                                  // 000000004E90: 6808083C
	v_mov_b32_e32 v196, 0                                      // 000000004E94: 7F880280
	s_mov_b64 exec, s[80:81]                                   // 000000004E98: BEFE0150
	buffer_load_dword v196, v1, s[12:15], 0 idxen              // 000000004E9C: E0502000 8003C401
	s_mov_b32 exec_lo, -1                                      // 000000004EA4: BEFE00C1
	s_mov_b32 exec_hi, -1                                      // 000000004EA8: BEFF00C1
	v_mov_b32_e32 v197, 0                                      // 000000004EAC: 7F8A0280
	s_mov_b64 exec, s[80:81]                                   // 000000004EB0: BEFE0150
	buffer_load_dword v197, v2, s[12:15], 0 idxen              // 000000004EB4: E0502000 8003C502
	s_mov_b32 exec_lo, -1                                      // 000000004EBC: BEFE00C1
	s_mov_b32 exec_hi, -1                                      // 000000004EC0: BEFF00C1
	v_mov_b32_e32 v198, 0                                      // 000000004EC4: 7F8C0280
	s_mov_b64 exec, s[80:81]                                   // 000000004EC8: BEFE0150
	buffer_load_dword v198, v3, s[12:15], 0 idxen              // 000000004ECC: E0502000 8003C603
	s_mov_b32 exec_lo, -1                                      // 000000004ED4: BEFE00C1
	s_mov_b32 exec_hi, -1                                      // 000000004ED8: BEFF00C1
	v_mov_b32_e32 v199, 0                                      // 000000004EDC: 7F8E0280
	s_mov_b64 exec, s[80:81]                                   // 000000004EE0: BEFE0150
	buffer_load_dword v199, v4, s[12:15], 0 idxen              // 000000004EE4: E0502000 8003C704
	s_mov_b32 exec_lo, -1                                      // 000000004EEC: BEFE00C1
	s_mov_b32 exec_hi, -1                                      // 000000004EF0: BEFF00C1
	s_mul_i32 s60, 4, s6                                       // 000000004EF4: 923C0684
	s_cmp_lt_i32 3, s72                                        // 000000004EF8: BF044883
	s_cselect_b32 s60, s60, 0                                  // 000000004EFC: 853C803C
	v_add_u32_e32 v1, s60, v1                                  // 000000004F00: 6802023C
	v_add_u32_e32 v2, s60, v2                                  // 000000004F04: 6804043C
	v_add_u32_e32 v3, s60, v3                                  // 000000004F08: 6806063C
	v_add_u32_e32 v4, s60, v4                                  // 000000004F0C: 6808083C
	s_waitcnt vmcnt(32) lgkmcnt(0)                             // 000000004F10: BF8C8070
	s_barrier                                                  // 000000004F14: BF8A0000
	s_cmp_lt_i32 0, s72                                        // 000000004F18: BF044880
	s_cbranch_scc1 label_0458                                  // 000000004F1C: BF850010
	v_mov_b32_e32 v152, 0                                      // 000000004F20: 7F300280
	v_mov_b32_e32 v153, 0                                      // 000000004F24: 7F320280
	v_mov_b32_e32 v154, 0                                      // 000000004F28: 7F340280
	v_mov_b32_e32 v155, 0                                      // 000000004F2C: 7F360280
	v_mov_b32_e32 v156, 0                                      // 000000004F30: 7F380280
	v_mov_b32_e32 v157, 0                                      // 000000004F34: 7F3A0280
	v_mov_b32_e32 v158, 0                                      // 000000004F38: 7F3C0280
	v_mov_b32_e32 v159, 0                                      // 000000004F3C: 7F3E0280
	v_mov_b32_e32 v160, 0                                      // 000000004F40: 7F400280
	v_mov_b32_e32 v161, 0                                      // 000000004F44: 7F420280
	v_mov_b32_e32 v162, 0                                      // 000000004F48: 7F440280
	v_mov_b32_e32 v163, 0                                      // 000000004F4C: 7F460280
	v_mov_b32_e32 v164, 0                                      // 000000004F50: 7F480280
	v_mov_b32_e32 v165, 0                                      // 000000004F54: 7F4A0280
	v_mov_b32_e32 v166, 0                                      // 000000004F58: 7F4C0280
	v_mov_b32_e32 v167, 0                                      // 000000004F5C: 7F4E0280

0000000000004f60 <label_0458>:
	v_perm_b32 v200, v153, v152, s63                           // 000000004F60: D1ED00C8 00FF3199
	v_perm_b32 v201, v153, v152, s64                           // 000000004F68: D1ED00C9 01033199
	v_perm_b32 v202, v155, v154, s63                           // 000000004F70: D1ED00CA 00FF359B
	v_perm_b32 v203, v155, v154, s64                           // 000000004F78: D1ED00CB 0103359B
	v_perm_b32 v204, v157, v156, s63                           // 000000004F80: D1ED00CC 00FF399D
	v_perm_b32 v205, v157, v156, s64                           // 000000004F88: D1ED00CD 0103399D
	v_perm_b32 v206, v159, v158, s63                           // 000000004F90: D1ED00CE 00FF3D9F
	v_perm_b32 v207, v159, v158, s64                           // 000000004F98: D1ED00CF 01033D9F
	v_perm_b32 v208, v161, v160, s63                           // 000000004FA0: D1ED00D0 00FF41A1
	v_perm_b32 v209, v161, v160, s64                           // 000000004FA8: D1ED00D1 010341A1
	v_perm_b32 v210, v163, v162, s63                           // 000000004FB0: D1ED00D2 00FF45A3
	v_perm_b32 v211, v163, v162, s64                           // 000000004FB8: D1ED00D3 010345A3
	v_perm_b32 v212, v165, v164, s63                           // 000000004FC0: D1ED00D4 00FF49A5
	v_perm_b32 v213, v165, v164, s64                           // 000000004FC8: D1ED00D5 010349A5
	v_perm_b32 v214, v167, v166, s63                           // 000000004FD0: D1ED00D6 00FF4DA7
	v_perm_b32 v215, v167, v166, s64                           // 000000004FD8: D1ED00D7 01034DA7
	ds_write_b32 v13, v200 offset:17408                        // 000000004FE0: D81A4400 0000C80D
	ds_write_b32 v13, v201 offset:18464                        // 000000004FE8: D81A4820 0000C90D
	ds_write_b32 v13, v202 offset:17536                        // 000000004FF0: D81A4480 0000CA0D
	ds_write_b32 v13, v203 offset:18592                        // 000000004FF8: D81A48A0 0000CB0D
	ds_write_b32 v13, v204 offset:21760                        // 000000005000: D81A5500 0000CC0D
	ds_write_b32 v13, v205 offset:22816                        // 000000005008: D81A5920 0000CD0D
	ds_write_b32 v13, v206 offset:21888                        // 000000005010: D81A5580 0000CE0D
	ds_write_b32 v13, v207 offset:22944                        // 000000005018: D81A59A0 0000CF0D
	ds_write_b32 v13, v208 offset:26112                        // 000000005020: D81A6600 0000D00D
	ds_write_b32 v13, v209 offset:27168                        // 000000005028: D81A6A20 0000D10D
	ds_write_b32 v13, v210 offset:26240                        // 000000005030: D81A6680 0000D20D
	ds_write_b32 v13, v211 offset:27296                        // 000000005038: D81A6AA0 0000D30D
	ds_write_b32 v13, v212 offset:30464                        // 000000005040: D81A7700 0000D40D
	ds_write_b32 v13, v213 offset:31520                        // 000000005048: D81A7B20 0000D50D
	ds_write_b32 v13, v214 offset:30592                        // 000000005050: D81A7780 0000D60D
	ds_write_b32 v13, v215 offset:31648                        // 000000005058: D81A7BA0 0000D70D
	ds_write_b32 v11, v152                                     // 000000005060: D81A0000 0000980B
	ds_write_b32 v11, v153 offset:1056                         // 000000005068: D81A0420 0000990B
	ds_write_b32 v11, v154 offset:128                          // 000000005070: D81A0080 00009A0B
	ds_write_b32 v11, v155 offset:1184                         // 000000005078: D81A04A0 00009B0B
	ds_write_b32 v11, v156 offset:4352                         // 000000005080: D81A1100 00009C0B
	ds_write_b32 v11, v157 offset:5408                         // 000000005088: D81A1520 00009D0B
	ds_write_b32 v11, v158 offset:4480                         // 000000005090: D81A1180 00009E0B
	ds_write_b32 v11, v159 offset:5536                         // 000000005098: D81A15A0 00009F0B
	ds_write_b32 v11, v160 offset:8704                         // 0000000050A0: D81A2200 0000A00B
	ds_write_b32 v11, v161 offset:9760                         // 0000000050A8: D81A2620 0000A10B
	ds_write_b32 v11, v162 offset:8832                         // 0000000050B0: D81A2280 0000A20B
	ds_write_b32 v11, v163 offset:9888                         // 0000000050B8: D81A26A0 0000A30B
	ds_write_b32 v11, v164 offset:13056                        // 0000000050C0: D81A3300 0000A40B
	ds_write_b32 v11, v165 offset:14112                        // 0000000050C8: D81A3720 0000A50B
	ds_write_b32 v11, v166 offset:13184                        // 0000000050D0: D81A3380 0000A60B
	ds_write_b32 v11, v167 offset:14240                        // 0000000050D8: D81A37A0 0000A70B
	v_mov_b32_e32 v152, 0                                      // 0000000050E0: 7F300280
	s_mov_b64 exec, s[80:81]                                   // 0000000050E4: BEFE0150
	buffer_load_dword v152, v248, s[16:19], 0 idxen            // 0000000050E8: E0502000 800498F8
	s_mov_b32 exec_lo, -1                                      // 0000000050F0: BEFE00C1
	s_mov_b32 exec_hi, -1                                      // 0000000050F4: BEFF00C1
	v_mov_b32_e32 v153, 0                                      // 0000000050F8: 7F320280
	s_mov_b64 exec, s[80:81]                                   // 0000000050FC: BEFE0150
	buffer_load_dword v153, v249, s[16:19], 0 idxen            // 000000005100: E0502000 800499F9
	s_mov_b32 exec_lo, -1                                      // 000000005108: BEFE00C1
	s_mov_b32 exec_hi, -1                                      // 00000000510C: BEFF00C1
	v_mov_b32_e32 v154, 0                                      // 000000005110: 7F340280
	s_mov_b64 exec, s[80:81]                                   // 000000005114: BEFE0150
	buffer_load_dword v154, v250, s[16:19], 0 idxen            // 000000005118: E0502000 80049AFA
	s_mov_b32 exec_lo, -1                                      // 000000005120: BEFE00C1
	s_mov_b32 exec_hi, -1                                      // 000000005124: BEFF00C1
	v_mov_b32_e32 v155, 0                                      // 000000005128: 7F360280
	s_mov_b64 exec, s[80:81]                                   // 00000000512C: BEFE0150
	buffer_load_dword v155, v251, s[16:19], 0 idxen            // 000000005130: E0502000 80049BFB
	s_mov_b32 exec_lo, -1                                      // 000000005138: BEFE00C1
	s_mov_b32 exec_hi, -1                                      // 00000000513C: BEFF00C1
	s_mul_i32 s60, 4, s7                                       // 000000005140: 923C0784
	s_cmp_lt_i32 0, s72                                        // 000000005144: BF044880
	s_cselect_b32 s60, s60, 0                                  // 000000005148: 853C803C
	v_add_u32_e32 v248, s60, v248                              // 00000000514C: 69F1F03C
	v_add_u32_e32 v249, s60, v249                              // 000000005150: 69F3F23C
	v_add_u32_e32 v250, s60, v250                              // 000000005154: 69F5F43C
	v_add_u32_e32 v251, s60, v251                              // 000000005158: 69F7F63C
	v_mov_b32_e32 v156, 0                                      // 00000000515C: 7F380280
	s_mov_b64 exec, s[80:81]                                   // 000000005160: BEFE0150
	buffer_load_dword v156, v248, s[16:19], 0 idxen            // 000000005164: E0502000 80049CF8
	s_mov_b32 exec_lo, -1                                      // 00000000516C: BEFE00C1
	s_mov_b32 exec_hi, -1                                      // 000000005170: BEFF00C1
	v_mov_b32_e32 v157, 0                                      // 000000005174: 7F3A0280
	s_mov_b64 exec, s[80:81]                                   // 000000005178: BEFE0150
	buffer_load_dword v157, v249, s[16:19], 0 idxen            // 00000000517C: E0502000 80049DF9
	s_mov_b32 exec_lo, -1                                      // 000000005184: BEFE00C1
	s_mov_b32 exec_hi, -1                                      // 000000005188: BEFF00C1
	v_mov_b32_e32 v158, 0                                      // 00000000518C: 7F3C0280
	s_mov_b64 exec, s[80:81]                                   // 000000005190: BEFE0150
	buffer_load_dword v158, v250, s[16:19], 0 idxen            // 000000005194: E0502000 80049EFA
	s_mov_b32 exec_lo, -1                                      // 00000000519C: BEFE00C1
	s_mov_b32 exec_hi, -1                                      // 0000000051A0: BEFF00C1
	v_mov_b32_e32 v159, 0                                      // 0000000051A4: 7F3E0280
	s_mov_b64 exec, s[80:81]                                   // 0000000051A8: BEFE0150
	buffer_load_dword v159, v251, s[16:19], 0 idxen            // 0000000051AC: E0502000 80049FFB
	s_mov_b32 exec_lo, -1                                      // 0000000051B4: BEFE00C1
	s_mov_b32 exec_hi, -1                                      // 0000000051B8: BEFF00C1
	s_mul_i32 s60, 4, s7                                       // 0000000051BC: 923C0784
	s_cmp_lt_i32 0, s72                                        // 0000000051C0: BF044880
	s_cselect_b32 s60, s60, 0                                  // 0000000051C4: 853C803C
	v_add_u32_e32 v248, s60, v248                              // 0000000051C8: 69F1F03C
	v_add_u32_e32 v249, s60, v249                              // 0000000051CC: 69F3F23C
	v_add_u32_e32 v250, s60, v250                              // 0000000051D0: 69F5F43C
	v_add_u32_e32 v251, s60, v251                              // 0000000051D4: 69F7F63C
	v_mov_b32_e32 v160, 0                                      // 0000000051D8: 7F400280
	s_mov_b64 exec, s[80:81]                                   // 0000000051DC: BEFE0150
	buffer_load_dword v160, v248, s[16:19], 0 idxen            // 0000000051E0: E0502000 8004A0F8
	s_mov_b32 exec_lo, -1                                      // 0000000051E8: BEFE00C1
	s_mov_b32 exec_hi, -1                                      // 0000000051EC: BEFF00C1
	v_mov_b32_e32 v161, 0                                      // 0000000051F0: 7F420280
	s_mov_b64 exec, s[80:81]                                   // 0000000051F4: BEFE0150
	buffer_load_dword v161, v249, s[16:19], 0 idxen            // 0000000051F8: E0502000 8004A1F9
	s_mov_b32 exec_lo, -1                                      // 000000005200: BEFE00C1
	s_mov_b32 exec_hi, -1                                      // 000000005204: BEFF00C1
	v_mov_b32_e32 v162, 0                                      // 000000005208: 7F440280
	s_mov_b64 exec, s[80:81]                                   // 00000000520C: BEFE0150
	buffer_load_dword v162, v250, s[16:19], 0 idxen            // 000000005210: E0502000 8004A2FA
	s_mov_b32 exec_lo, -1                                      // 000000005218: BEFE00C1
	s_mov_b32 exec_hi, -1                                      // 00000000521C: BEFF00C1
	v_mov_b32_e32 v163, 0                                      // 000000005220: 7F460280
	s_mov_b64 exec, s[80:81]                                   // 000000005224: BEFE0150
	buffer_load_dword v163, v251, s[16:19], 0 idxen            // 000000005228: E0502000 8004A3FB
	s_mov_b32 exec_lo, -1                                      // 000000005230: BEFE00C1
	s_mov_b32 exec_hi, -1                                      // 000000005234: BEFF00C1
	s_mul_i32 s60, 4, s7                                       // 000000005238: 923C0784
	s_cmp_lt_i32 0, s72                                        // 00000000523C: BF044880
	s_cselect_b32 s60, s60, 0                                  // 000000005240: 853C803C
	v_add_u32_e32 v248, s60, v248                              // 000000005244: 69F1F03C
	v_add_u32_e32 v249, s60, v249                              // 000000005248: 69F3F23C
	v_add_u32_e32 v250, s60, v250                              // 00000000524C: 69F5F43C
	v_add_u32_e32 v251, s60, v251                              // 000000005250: 69F7F63C
	v_mov_b32_e32 v164, 0                                      // 000000005254: 7F480280
	s_mov_b64 exec, s[80:81]                                   // 000000005258: BEFE0150
	buffer_load_dword v164, v248, s[16:19], 0 idxen            // 00000000525C: E0502000 8004A4F8
	s_mov_b32 exec_lo, -1                                      // 000000005264: BEFE00C1
	s_mov_b32 exec_hi, -1                                      // 000000005268: BEFF00C1
	v_mov_b32_e32 v165, 0                                      // 00000000526C: 7F4A0280
	s_mov_b64 exec, s[80:81]                                   // 000000005270: BEFE0150
	buffer_load_dword v165, v249, s[16:19], 0 idxen            // 000000005274: E0502000 8004A5F9
	s_mov_b32 exec_lo, -1                                      // 00000000527C: BEFE00C1
	s_mov_b32 exec_hi, -1                                      // 000000005280: BEFF00C1
	v_mov_b32_e32 v166, 0                                      // 000000005284: 7F4C0280
	s_mov_b64 exec, s[80:81]                                   // 000000005288: BEFE0150
	buffer_load_dword v166, v250, s[16:19], 0 idxen            // 00000000528C: E0502000 8004A6FA
	s_mov_b32 exec_lo, -1                                      // 000000005294: BEFE00C1
	s_mov_b32 exec_hi, -1                                      // 000000005298: BEFF00C1
	v_mov_b32_e32 v167, 0                                      // 00000000529C: 7F4E0280
	s_mov_b64 exec, s[80:81]                                   // 0000000052A0: BEFE0150
	buffer_load_dword v167, v251, s[16:19], 0 idxen            // 0000000052A4: E0502000 8004A7FB
	s_mov_b32 exec_lo, -1                                      // 0000000052AC: BEFE00C1
	s_mov_b32 exec_hi, -1                                      // 0000000052B0: BEFF00C1
	s_mul_i32 s60, 4, s7                                       // 0000000052B4: 923C0784
	s_cmp_lt_i32 1, s72                                        // 0000000052B8: BF044881
	s_cselect_b32 s60, s60, 0                                  // 0000000052BC: 853C803C
	v_add_u32_e32 v248, s60, v248                              // 0000000052C0: 69F1F03C
	v_add_u32_e32 v249, s60, v249                              // 0000000052C4: 69F3F23C
	v_add_u32_e32 v250, s60, v250                              // 0000000052C8: 69F5F43C
	v_add_u32_e32 v251, s60, v251                              // 0000000052CC: 69F7F63C
	s_waitcnt lgkmcnt(0)                                       // 0000000052D0: BF8CC07F
	s_barrier                                                  // 0000000052D4: BF8A0000
	ds_read_b128 a[48:51], v23 offset:17408                    // 0000000052D8: DBFE4400 30000017
	ds_read_b128 a[52:55], v23 offset:17664                    // 0000000052E0: DBFE4500 34000017
	ds_read_b128 a[56:59], v23 offset:26112                    // 0000000052E8: DBFE6600 38000017
	ds_read_b128 a[60:63], v23 offset:26368                    // 0000000052F0: DBFE6700 3C000017
	ds_read_b128 a[0:3], v22                                   // 0000000052F8: DBFE0000 00000016
	ds_read_b128 a[4:7], v22 offset:512                        // 000000005300: DBFE0200 04000016
	ds_read_b128 a[8:11], v22 offset:2176                      // 000000005308: DBFE0880 08000016
	ds_read_b128 a[12:15], v22 offset:2688                     // 000000005310: DBFE0A80 0C000016
	s_waitcnt vmcnt(32) lgkmcnt(0)                             // 000000005318: BF8C8070
	s_barrier                                                  // 00000000531C: BF8A0000
	s_cmp_lt_i32 1, s72                                        // 000000005320: BF044881
	s_cbranch_scc1 label_055A                                  // 000000005324: BF850010
	v_mov_b32_e32 v168, 0                                      // 000000005328: 7F500280
	v_mov_b32_e32 v169, 0                                      // 00000000532C: 7F520280
	v_mov_b32_e32 v170, 0                                      // 000000005330: 7F540280
	v_mov_b32_e32 v171, 0                                      // 000000005334: 7F560280
	v_mov_b32_e32 v172, 0                                      // 000000005338: 7F580280
	v_mov_b32_e32 v173, 0                                      // 00000000533C: 7F5A0280
	v_mov_b32_e32 v174, 0                                      // 000000005340: 7F5C0280
	v_mov_b32_e32 v175, 0                                      // 000000005344: 7F5E0280
	v_mov_b32_e32 v176, 0                                      // 000000005348: 7F600280
	v_mov_b32_e32 v177, 0                                      // 00000000534C: 7F620280
	v_mov_b32_e32 v178, 0                                      // 000000005350: 7F640280
	v_mov_b32_e32 v179, 0                                      // 000000005354: 7F660280
	v_mov_b32_e32 v180, 0                                      // 000000005358: 7F680280
	v_mov_b32_e32 v181, 0                                      // 00000000535C: 7F6A0280
	v_mov_b32_e32 v182, 0                                      // 000000005360: 7F6C0280
	v_mov_b32_e32 v183, 0                                      // 000000005364: 7F6E0280

0000000000005368 <label_055A>:
	v_perm_b32 v200, v169, v168, s63                           // 000000005368: D1ED00C8 00FF51A9
	v_perm_b32 v201, v169, v168, s64                           // 000000005370: D1ED00C9 010351A9
	v_perm_b32 v202, v171, v170, s63                           // 000000005378: D1ED00CA 00FF55AB
	v_perm_b32 v203, v171, v170, s64                           // 000000005380: D1ED00CB 010355AB
	v_perm_b32 v204, v173, v172, s63                           // 000000005388: D1ED00CC 00FF59AD
	v_perm_b32 v205, v173, v172, s64                           // 000000005390: D1ED00CD 010359AD
	v_perm_b32 v206, v175, v174, s63                           // 000000005398: D1ED00CE 00FF5DAF
	v_perm_b32 v207, v175, v174, s64                           // 0000000053A0: D1ED00CF 01035DAF
	v_perm_b32 v208, v177, v176, s63                           // 0000000053A8: D1ED00D0 00FF61B1
	v_perm_b32 v209, v177, v176, s64                           // 0000000053B0: D1ED00D1 010361B1
	v_perm_b32 v210, v179, v178, s63                           // 0000000053B8: D1ED00D2 00FF65B3
	v_perm_b32 v211, v179, v178, s64                           // 0000000053C0: D1ED00D3 010365B3
	v_perm_b32 v212, v181, v180, s63                           // 0000000053C8: D1ED00D4 00FF69B5
	v_perm_b32 v213, v181, v180, s64                           // 0000000053D0: D1ED00D5 010369B5
	v_perm_b32 v214, v183, v182, s63                           // 0000000053D8: D1ED00D6 00FF6DB7
	v_perm_b32 v215, v183, v182, s64                           // 0000000053E0: D1ED00D7 01036DB7
	ds_write_b32 v13, v200 offset:17408                        // 0000000053E8: D81A4400 0000C80D
	ds_write_b32 v13, v201 offset:18464                        // 0000000053F0: D81A4820 0000C90D
	ds_write_b32 v13, v202 offset:17536                        // 0000000053F8: D81A4480 0000CA0D
	ds_write_b32 v13, v203 offset:18592                        // 000000005400: D81A48A0 0000CB0D
	ds_write_b32 v13, v204 offset:21760                        // 000000005408: D81A5500 0000CC0D
	ds_write_b32 v13, v205 offset:22816                        // 000000005410: D81A5920 0000CD0D
	ds_write_b32 v13, v206 offset:21888                        // 000000005418: D81A5580 0000CE0D
	ds_write_b32 v13, v207 offset:22944                        // 000000005420: D81A59A0 0000CF0D
	ds_write_b32 v13, v208 offset:26112                        // 000000005428: D81A6600 0000D00D
	ds_write_b32 v13, v209 offset:27168                        // 000000005430: D81A6A20 0000D10D
	ds_write_b32 v13, v210 offset:26240                        // 000000005438: D81A6680 0000D20D
	ds_write_b32 v13, v211 offset:27296                        // 000000005440: D81A6AA0 0000D30D
	ds_write_b32 v13, v212 offset:30464                        // 000000005448: D81A7700 0000D40D
	ds_write_b32 v13, v213 offset:31520                        // 000000005450: D81A7B20 0000D50D
	ds_write_b32 v13, v214 offset:30592                        // 000000005458: D81A7780 0000D60D
	ds_write_b32 v13, v215 offset:31648                        // 000000005460: D81A7BA0 0000D70D
	ds_write_b32 v11, v168                                     // 000000005468: D81A0000 0000A80B
	ds_write_b32 v11, v169 offset:1056                         // 000000005470: D81A0420 0000A90B
	ds_write_b32 v11, v170 offset:128                          // 000000005478: D81A0080 0000AA0B
	ds_write_b32 v11, v171 offset:1184                         // 000000005480: D81A04A0 0000AB0B
	ds_write_b32 v11, v172 offset:4352                         // 000000005488: D81A1100 0000AC0B
	ds_write_b32 v11, v173 offset:5408                         // 000000005490: D81A1520 0000AD0B
	ds_write_b32 v11, v174 offset:4480                         // 000000005498: D81A1180 0000AE0B
	ds_write_b32 v11, v175 offset:5536                         // 0000000054A0: D81A15A0 0000AF0B
	ds_write_b32 v11, v176 offset:8704                         // 0000000054A8: D81A2200 0000B00B
	ds_write_b32 v11, v177 offset:9760                         // 0000000054B0: D81A2620 0000B10B
	ds_write_b32 v11, v178 offset:8832                         // 0000000054B8: D81A2280 0000B20B
	ds_write_b32 v11, v179 offset:9888                         // 0000000054C0: D81A26A0 0000B30B
	ds_write_b32 v11, v180 offset:13056                        // 0000000054C8: D81A3300 0000B40B
	ds_write_b32 v11, v181 offset:14112                        // 0000000054D0: D81A3720 0000B50B
	ds_write_b32 v11, v182 offset:13184                        // 0000000054D8: D81A3380 0000B60B
	ds_write_b32 v11, v183 offset:14240                        // 0000000054E0: D81A37A0 0000B70B
	v_mov_b32_e32 v168, 0                                      // 0000000054E8: 7F500280
	s_mov_b64 exec, s[80:81]                                   // 0000000054EC: BEFE0150
	buffer_load_dword v168, v248, s[16:19], 0 idxen            // 0000000054F0: E0502000 8004A8F8
	s_mov_b32 exec_lo, -1                                      // 0000000054F8: BEFE00C1
	s_mov_b32 exec_hi, -1                                      // 0000000054FC: BEFF00C1
	v_mov_b32_e32 v169, 0                                      // 000000005500: 7F520280
	s_mov_b64 exec, s[80:81]                                   // 000000005504: BEFE0150
	buffer_load_dword v169, v249, s[16:19], 0 idxen            // 000000005508: E0502000 8004A9F9
	s_mov_b32 exec_lo, -1                                      // 000000005510: BEFE00C1
	s_mov_b32 exec_hi, -1                                      // 000000005514: BEFF00C1
	v_mov_b32_e32 v170, 0                                      // 000000005518: 7F540280
	s_mov_b64 exec, s[80:81]                                   // 00000000551C: BEFE0150
	buffer_load_dword v170, v250, s[16:19], 0 idxen            // 000000005520: E0502000 8004AAFA
	s_mov_b32 exec_lo, -1                                      // 000000005528: BEFE00C1
	s_mov_b32 exec_hi, -1                                      // 00000000552C: BEFF00C1
	v_mov_b32_e32 v171, 0                                      // 000000005530: 7F560280
	s_mov_b64 exec, s[80:81]                                   // 000000005534: BEFE0150
	buffer_load_dword v171, v251, s[16:19], 0 idxen            // 000000005538: E0502000 8004ABFB
	s_mov_b32 exec_lo, -1                                      // 000000005540: BEFE00C1
	s_mov_b32 exec_hi, -1                                      // 000000005544: BEFF00C1
	s_mul_i32 s60, 4, s7                                       // 000000005548: 923C0784
	s_cmp_lt_i32 1, s72                                        // 00000000554C: BF044881
	s_cselect_b32 s60, s60, 0                                  // 000000005550: 853C803C
	v_add_u32_e32 v248, s60, v248                              // 000000005554: 69F1F03C
	v_add_u32_e32 v249, s60, v249                              // 000000005558: 69F3F23C
	v_add_u32_e32 v250, s60, v250                              // 00000000555C: 69F5F43C
	v_add_u32_e32 v251, s60, v251                              // 000000005560: 69F7F63C
	v_mov_b32_e32 v172, 0                                      // 000000005564: 7F580280
	s_mov_b64 exec, s[80:81]                                   // 000000005568: BEFE0150
	buffer_load_dword v172, v248, s[16:19], 0 idxen            // 00000000556C: E0502000 8004ACF8
	s_mov_b32 exec_lo, -1                                      // 000000005574: BEFE00C1
	s_mov_b32 exec_hi, -1                                      // 000000005578: BEFF00C1
	v_mov_b32_e32 v173, 0                                      // 00000000557C: 7F5A0280
	s_mov_b64 exec, s[80:81]                                   // 000000005580: BEFE0150
	buffer_load_dword v173, v249, s[16:19], 0 idxen            // 000000005584: E0502000 8004ADF9
	s_mov_b32 exec_lo, -1                                      // 00000000558C: BEFE00C1
	s_mov_b32 exec_hi, -1                                      // 000000005590: BEFF00C1
	v_mov_b32_e32 v174, 0                                      // 000000005594: 7F5C0280
	s_mov_b64 exec, s[80:81]                                   // 000000005598: BEFE0150
	buffer_load_dword v174, v250, s[16:19], 0 idxen            // 00000000559C: E0502000 8004AEFA
	s_mov_b32 exec_lo, -1                                      // 0000000055A4: BEFE00C1
	s_mov_b32 exec_hi, -1                                      // 0000000055A8: BEFF00C1
	v_mov_b32_e32 v175, 0                                      // 0000000055AC: 7F5E0280
	s_mov_b64 exec, s[80:81]                                   // 0000000055B0: BEFE0150
	buffer_load_dword v175, v251, s[16:19], 0 idxen            // 0000000055B4: E0502000 8004AFFB
	s_mov_b32 exec_lo, -1                                      // 0000000055BC: BEFE00C1
	s_mov_b32 exec_hi, -1                                      // 0000000055C0: BEFF00C1
	s_mul_i32 s60, 4, s7                                       // 0000000055C4: 923C0784
	s_cmp_lt_i32 1, s72                                        // 0000000055C8: BF044881
	s_cselect_b32 s60, s60, 0                                  // 0000000055CC: 853C803C
	v_add_u32_e32 v248, s60, v248                              // 0000000055D0: 69F1F03C
	v_add_u32_e32 v249, s60, v249                              // 0000000055D4: 69F3F23C
	v_add_u32_e32 v250, s60, v250                              // 0000000055D8: 69F5F43C
	v_add_u32_e32 v251, s60, v251                              // 0000000055DC: 69F7F63C
	v_mov_b32_e32 v176, 0                                      // 0000000055E0: 7F600280
	s_mov_b64 exec, s[80:81]                                   // 0000000055E4: BEFE0150
	buffer_load_dword v176, v248, s[16:19], 0 idxen            // 0000000055E8: E0502000 8004B0F8
	s_mov_b32 exec_lo, -1                                      // 0000000055F0: BEFE00C1
	s_mov_b32 exec_hi, -1                                      // 0000000055F4: BEFF00C1
	v_mov_b32_e32 v177, 0                                      // 0000000055F8: 7F620280
	s_mov_b64 exec, s[80:81]                                   // 0000000055FC: BEFE0150
	buffer_load_dword v177, v249, s[16:19], 0 idxen            // 000000005600: E0502000 8004B1F9
	s_mov_b32 exec_lo, -1                                      // 000000005608: BEFE00C1
	s_mov_b32 exec_hi, -1                                      // 00000000560C: BEFF00C1
	v_mov_b32_e32 v178, 0                                      // 000000005610: 7F640280
	s_mov_b64 exec, s[80:81]                                   // 000000005614: BEFE0150
	buffer_load_dword v178, v250, s[16:19], 0 idxen            // 000000005618: E0502000 8004B2FA
	s_mov_b32 exec_lo, -1                                      // 000000005620: BEFE00C1
	s_mov_b32 exec_hi, -1                                      // 000000005624: BEFF00C1
	v_mov_b32_e32 v179, 0                                      // 000000005628: 7F660280
	s_mov_b64 exec, s[80:81]                                   // 00000000562C: BEFE0150
	buffer_load_dword v179, v251, s[16:19], 0 idxen            // 000000005630: E0502000 8004B3FB
	s_mov_b32 exec_lo, -1                                      // 000000005638: BEFE00C1
	s_mov_b32 exec_hi, -1                                      // 00000000563C: BEFF00C1
	s_mul_i32 s60, 4, s7                                       // 000000005640: 923C0784
	s_cmp_lt_i32 1, s72                                        // 000000005644: BF044881
	s_cselect_b32 s60, s60, 0                                  // 000000005648: 853C803C
	v_add_u32_e32 v248, s60, v248                              // 00000000564C: 69F1F03C
	v_add_u32_e32 v249, s60, v249                              // 000000005650: 69F3F23C
	v_add_u32_e32 v250, s60, v250                              // 000000005654: 69F5F43C
	v_add_u32_e32 v251, s60, v251                              // 000000005658: 69F7F63C
	v_mov_b32_e32 v180, 0                                      // 00000000565C: 7F680280
	s_mov_b64 exec, s[80:81]                                   // 000000005660: BEFE0150
	buffer_load_dword v180, v248, s[16:19], 0 idxen            // 000000005664: E0502000 8004B4F8
	s_mov_b32 exec_lo, -1                                      // 00000000566C: BEFE00C1
	s_mov_b32 exec_hi, -1                                      // 000000005670: BEFF00C1
	v_mov_b32_e32 v181, 0                                      // 000000005674: 7F6A0280
	s_mov_b64 exec, s[80:81]                                   // 000000005678: BEFE0150
	buffer_load_dword v181, v249, s[16:19], 0 idxen            // 00000000567C: E0502000 8004B5F9
	s_mov_b32 exec_lo, -1                                      // 000000005684: BEFE00C1
	s_mov_b32 exec_hi, -1                                      // 000000005688: BEFF00C1
	v_mov_b32_e32 v182, 0                                      // 00000000568C: 7F6C0280
	s_mov_b64 exec, s[80:81]                                   // 000000005690: BEFE0150
	buffer_load_dword v182, v250, s[16:19], 0 idxen            // 000000005694: E0502000 8004B6FA
	s_mov_b32 exec_lo, -1                                      // 00000000569C: BEFE00C1
	s_mov_b32 exec_hi, -1                                      // 0000000056A0: BEFF00C1
	v_mov_b32_e32 v183, 0                                      // 0000000056A4: 7F6E0280
	s_mov_b64 exec, s[80:81]                                   // 0000000056A8: BEFE0150
	buffer_load_dword v183, v251, s[16:19], 0 idxen            // 0000000056AC: E0502000 8004B7FB
	s_mov_b32 exec_lo, -1                                      // 0000000056B4: BEFE00C1
	s_mov_b32 exec_hi, -1                                      // 0000000056B8: BEFF00C1
	s_mul_i32 s60, 4, s7                                       // 0000000056BC: 923C0784
	s_cmp_lt_i32 2, s72                                        // 0000000056C0: BF044882
	s_cselect_b32 s60, s60, 0                                  // 0000000056C4: 853C803C
	v_add_u32_e32 v248, s60, v248                              // 0000000056C8: 69F1F03C
	v_add_u32_e32 v249, s60, v249                              // 0000000056CC: 69F3F23C
	v_add_u32_e32 v250, s60, v250                              // 0000000056D0: 69F5F43C
	v_add_u32_e32 v251, s60, v251                              // 0000000056D4: 69F7F63C
	s_waitcnt lgkmcnt(0)                                       // 0000000056D8: BF8CC07F
	s_barrier                                                  // 0000000056DC: BF8A0000
	ds_read_b128 a[64:67], v23 offset:17408                    // 0000000056E0: DBFE4400 40000017
	ds_read_b128 a[68:71], v23 offset:17664                    // 0000000056E8: DBFE4500 44000017
	ds_read_b128 a[72:75], v23 offset:26112                    // 0000000056F0: DBFE6600 48000017
	ds_read_b128 a[76:79], v23 offset:26368                    // 0000000056F8: DBFE6700 4C000017
	ds_read_b128 a[16:19], v22                                 // 000000005700: DBFE0000 10000016
	ds_read_b128 a[20:23], v22 offset:512                      // 000000005708: DBFE0200 14000016
	ds_read_b128 a[24:27], v22 offset:2176                     // 000000005710: DBFE0880 18000016
	ds_read_b128 a[28:31], v22 offset:2688                     // 000000005718: DBFE0A80 1C000016
	s_waitcnt vmcnt(32) lgkmcnt(0)                             // 000000005720: BF8C8070
	s_barrier                                                  // 000000005724: BF8A0000
	s_cmp_lt_i32 2, s72                                        // 000000005728: BF044882
	s_cbranch_scc1 label_065C                                  // 00000000572C: BF850010
	v_mov_b32_e32 v184, 0                                      // 000000005730: 7F700280
	v_mov_b32_e32 v185, 0                                      // 000000005734: 7F720280
	v_mov_b32_e32 v186, 0                                      // 000000005738: 7F740280
	v_mov_b32_e32 v187, 0                                      // 00000000573C: 7F760280
	v_mov_b32_e32 v188, 0                                      // 000000005740: 7F780280
	v_mov_b32_e32 v189, 0                                      // 000000005744: 7F7A0280
	v_mov_b32_e32 v190, 0                                      // 000000005748: 7F7C0280
	v_mov_b32_e32 v191, 0                                      // 00000000574C: 7F7E0280
	v_mov_b32_e32 v192, 0                                      // 000000005750: 7F800280
	v_mov_b32_e32 v193, 0                                      // 000000005754: 7F820280
	v_mov_b32_e32 v194, 0                                      // 000000005758: 7F840280
	v_mov_b32_e32 v195, 0                                      // 00000000575C: 7F860280
	v_mov_b32_e32 v196, 0                                      // 000000005760: 7F880280
	v_mov_b32_e32 v197, 0                                      // 000000005764: 7F8A0280
	v_mov_b32_e32 v198, 0                                      // 000000005768: 7F8C0280
	v_mov_b32_e32 v199, 0                                      // 00000000576C: 7F8E0280

0000000000005770 <label_065C>:
	v_perm_b32 v200, v185, v184, s63                           // 000000005770: D1ED00C8 00FF71B9
	v_perm_b32 v201, v185, v184, s64                           // 000000005778: D1ED00C9 010371B9
	v_perm_b32 v202, v187, v186, s63                           // 000000005780: D1ED00CA 00FF75BB
	v_perm_b32 v203, v187, v186, s64                           // 000000005788: D1ED00CB 010375BB
	v_perm_b32 v204, v189, v188, s63                           // 000000005790: D1ED00CC 00FF79BD
	v_perm_b32 v205, v189, v188, s64                           // 000000005798: D1ED00CD 010379BD
	v_perm_b32 v206, v191, v190, s63                           // 0000000057A0: D1ED00CE 00FF7DBF
	v_perm_b32 v207, v191, v190, s64                           // 0000000057A8: D1ED00CF 01037DBF
	v_perm_b32 v208, v193, v192, s63                           // 0000000057B0: D1ED00D0 00FF81C1
	v_perm_b32 v209, v193, v192, s64                           // 0000000057B8: D1ED00D1 010381C1
	v_perm_b32 v210, v195, v194, s63                           // 0000000057C0: D1ED00D2 00FF85C3
	v_perm_b32 v211, v195, v194, s64                           // 0000000057C8: D1ED00D3 010385C3
	v_perm_b32 v212, v197, v196, s63                           // 0000000057D0: D1ED00D4 00FF89C5
	v_perm_b32 v213, v197, v196, s64                           // 0000000057D8: D1ED00D5 010389C5
	v_perm_b32 v214, v199, v198, s63                           // 0000000057E0: D1ED00D6 00FF8DC7
	v_perm_b32 v215, v199, v198, s64                           // 0000000057E8: D1ED00D7 01038DC7
	ds_write_b32 v13, v200 offset:17408                        // 0000000057F0: D81A4400 0000C80D
	ds_write_b32 v13, v201 offset:18464                        // 0000000057F8: D81A4820 0000C90D
	ds_write_b32 v13, v202 offset:17536                        // 000000005800: D81A4480 0000CA0D
	ds_write_b32 v13, v203 offset:18592                        // 000000005808: D81A48A0 0000CB0D
	ds_write_b32 v13, v204 offset:21760                        // 000000005810: D81A5500 0000CC0D
	ds_write_b32 v13, v205 offset:22816                        // 000000005818: D81A5920 0000CD0D
	ds_write_b32 v13, v206 offset:21888                        // 000000005820: D81A5580 0000CE0D
	ds_write_b32 v13, v207 offset:22944                        // 000000005828: D81A59A0 0000CF0D
	ds_write_b32 v13, v208 offset:26112                        // 000000005830: D81A6600 0000D00D
	ds_write_b32 v13, v209 offset:27168                        // 000000005838: D81A6A20 0000D10D
	ds_write_b32 v13, v210 offset:26240                        // 000000005840: D81A6680 0000D20D
	ds_write_b32 v13, v211 offset:27296                        // 000000005848: D81A6AA0 0000D30D
	ds_write_b32 v13, v212 offset:30464                        // 000000005850: D81A7700 0000D40D
	ds_write_b32 v13, v213 offset:31520                        // 000000005858: D81A7B20 0000D50D
	ds_write_b32 v13, v214 offset:30592                        // 000000005860: D81A7780 0000D60D
	ds_write_b32 v13, v215 offset:31648                        // 000000005868: D81A7BA0 0000D70D
	ds_write_b32 v11, v184                                     // 000000005870: D81A0000 0000B80B
	ds_write_b32 v11, v185 offset:1056                         // 000000005878: D81A0420 0000B90B
	ds_write_b32 v11, v186 offset:128                          // 000000005880: D81A0080 0000BA0B
	ds_write_b32 v11, v187 offset:1184                         // 000000005888: D81A04A0 0000BB0B
	ds_write_b32 v11, v188 offset:4352                         // 000000005890: D81A1100 0000BC0B
	ds_write_b32 v11, v189 offset:5408                         // 000000005898: D81A1520 0000BD0B
	ds_write_b32 v11, v190 offset:4480                         // 0000000058A0: D81A1180 0000BE0B
	ds_write_b32 v11, v191 offset:5536                         // 0000000058A8: D81A15A0 0000BF0B
	ds_write_b32 v11, v192 offset:8704                         // 0000000058B0: D81A2200 0000C00B
	ds_write_b32 v11, v193 offset:9760                         // 0000000058B8: D81A2620 0000C10B
	ds_write_b32 v11, v194 offset:8832                         // 0000000058C0: D81A2280 0000C20B
	ds_write_b32 v11, v195 offset:9888                         // 0000000058C8: D81A26A0 0000C30B
	ds_write_b32 v11, v196 offset:13056                        // 0000000058D0: D81A3300 0000C40B
	ds_write_b32 v11, v197 offset:14112                        // 0000000058D8: D81A3720 0000C50B
	ds_write_b32 v11, v198 offset:13184                        // 0000000058E0: D81A3380 0000C60B
	ds_write_b32 v11, v199 offset:14240                        // 0000000058E8: D81A37A0 0000C70B
	v_mov_b32_e32 v184, 0                                      // 0000000058F0: 7F700280
	s_mov_b64 exec, s[80:81]                                   // 0000000058F4: BEFE0150
	buffer_load_dword v184, v248, s[16:19], 0 idxen            // 0000000058F8: E0502000 8004B8F8
	s_mov_b32 exec_lo, -1                                      // 000000005900: BEFE00C1
	s_mov_b32 exec_hi, -1                                      // 000000005904: BEFF00C1
	v_mov_b32_e32 v185, 0                                      // 000000005908: 7F720280
	s_mov_b64 exec, s[80:81]                                   // 00000000590C: BEFE0150
	buffer_load_dword v185, v249, s[16:19], 0 idxen            // 000000005910: E0502000 8004B9F9
	s_mov_b32 exec_lo, -1                                      // 000000005918: BEFE00C1
	s_mov_b32 exec_hi, -1                                      // 00000000591C: BEFF00C1
	v_mov_b32_e32 v186, 0                                      // 000000005920: 7F740280
	s_mov_b64 exec, s[80:81]                                   // 000000005924: BEFE0150
	buffer_load_dword v186, v250, s[16:19], 0 idxen            // 000000005928: E0502000 8004BAFA
	s_mov_b32 exec_lo, -1                                      // 000000005930: BEFE00C1
	s_mov_b32 exec_hi, -1                                      // 000000005934: BEFF00C1
	v_mov_b32_e32 v187, 0                                      // 000000005938: 7F760280
	s_mov_b64 exec, s[80:81]                                   // 00000000593C: BEFE0150
	buffer_load_dword v187, v251, s[16:19], 0 idxen            // 000000005940: E0502000 8004BBFB
	s_mov_b32 exec_lo, -1                                      // 000000005948: BEFE00C1
	s_mov_b32 exec_hi, -1                                      // 00000000594C: BEFF00C1
	s_mul_i32 s60, 4, s7                                       // 000000005950: 923C0784
	s_cmp_lt_i32 2, s72                                        // 000000005954: BF044882
	s_cselect_b32 s60, s60, 0                                  // 000000005958: 853C803C
	v_add_u32_e32 v248, s60, v248                              // 00000000595C: 69F1F03C
	v_add_u32_e32 v249, s60, v249                              // 000000005960: 69F3F23C
	v_add_u32_e32 v250, s60, v250                              // 000000005964: 69F5F43C
	v_add_u32_e32 v251, s60, v251                              // 000000005968: 69F7F63C
	v_mov_b32_e32 v188, 0                                      // 00000000596C: 7F780280
	s_mov_b64 exec, s[80:81]                                   // 000000005970: BEFE0150
	buffer_load_dword v188, v248, s[16:19], 0 idxen            // 000000005974: E0502000 8004BCF8
	s_mov_b32 exec_lo, -1                                      // 00000000597C: BEFE00C1
	s_mov_b32 exec_hi, -1                                      // 000000005980: BEFF00C1
	v_mov_b32_e32 v189, 0                                      // 000000005984: 7F7A0280
	s_mov_b64 exec, s[80:81]                                   // 000000005988: BEFE0150
	buffer_load_dword v189, v249, s[16:19], 0 idxen            // 00000000598C: E0502000 8004BDF9
	s_mov_b32 exec_lo, -1                                      // 000000005994: BEFE00C1
	s_mov_b32 exec_hi, -1                                      // 000000005998: BEFF00C1
	v_mov_b32_e32 v190, 0                                      // 00000000599C: 7F7C0280
	s_mov_b64 exec, s[80:81]                                   // 0000000059A0: BEFE0150
	buffer_load_dword v190, v250, s[16:19], 0 idxen            // 0000000059A4: E0502000 8004BEFA
	s_mov_b32 exec_lo, -1                                      // 0000000059AC: BEFE00C1
	s_mov_b32 exec_hi, -1                                      // 0000000059B0: BEFF00C1
	v_mov_b32_e32 v191, 0                                      // 0000000059B4: 7F7E0280
	s_mov_b64 exec, s[80:81]                                   // 0000000059B8: BEFE0150
	buffer_load_dword v191, v251, s[16:19], 0 idxen            // 0000000059BC: E0502000 8004BFFB
	s_mov_b32 exec_lo, -1                                      // 0000000059C4: BEFE00C1
	s_mov_b32 exec_hi, -1                                      // 0000000059C8: BEFF00C1
	s_mul_i32 s60, 4, s7                                       // 0000000059CC: 923C0784
	s_cmp_lt_i32 2, s72                                        // 0000000059D0: BF044882
	s_cselect_b32 s60, s60, 0                                  // 0000000059D4: 853C803C
	v_add_u32_e32 v248, s60, v248                              // 0000000059D8: 69F1F03C
	v_add_u32_e32 v249, s60, v249                              // 0000000059DC: 69F3F23C
	v_add_u32_e32 v250, s60, v250                              // 0000000059E0: 69F5F43C
	v_add_u32_e32 v251, s60, v251                              // 0000000059E4: 69F7F63C
	v_mov_b32_e32 v192, 0                                      // 0000000059E8: 7F800280
	s_mov_b64 exec, s[80:81]                                   // 0000000059EC: BEFE0150
	buffer_load_dword v192, v248, s[16:19], 0 idxen            // 0000000059F0: E0502000 8004C0F8
	s_mov_b32 exec_lo, -1                                      // 0000000059F8: BEFE00C1
	s_mov_b32 exec_hi, -1                                      // 0000000059FC: BEFF00C1
	v_mov_b32_e32 v193, 0                                      // 000000005A00: 7F820280
	s_mov_b64 exec, s[80:81]                                   // 000000005A04: BEFE0150
	buffer_load_dword v193, v249, s[16:19], 0 idxen            // 000000005A08: E0502000 8004C1F9
	s_mov_b32 exec_lo, -1                                      // 000000005A10: BEFE00C1
	s_mov_b32 exec_hi, -1                                      // 000000005A14: BEFF00C1
	v_mov_b32_e32 v194, 0                                      // 000000005A18: 7F840280
	s_mov_b64 exec, s[80:81]                                   // 000000005A1C: BEFE0150
	buffer_load_dword v194, v250, s[16:19], 0 idxen            // 000000005A20: E0502000 8004C2FA
	s_mov_b32 exec_lo, -1                                      // 000000005A28: BEFE00C1
	s_mov_b32 exec_hi, -1                                      // 000000005A2C: BEFF00C1
	v_mov_b32_e32 v195, 0                                      // 000000005A30: 7F860280
	s_mov_b64 exec, s[80:81]                                   // 000000005A34: BEFE0150
	buffer_load_dword v195, v251, s[16:19], 0 idxen            // 000000005A38: E0502000 8004C3FB
	s_mov_b32 exec_lo, -1                                      // 000000005A40: BEFE00C1
	s_mov_b32 exec_hi, -1                                      // 000000005A44: BEFF00C1
	s_mul_i32 s60, 4, s7                                       // 000000005A48: 923C0784
	s_cmp_lt_i32 2, s72                                        // 000000005A4C: BF044882
	s_cselect_b32 s60, s60, 0                                  // 000000005A50: 853C803C
	v_add_u32_e32 v248, s60, v248                              // 000000005A54: 69F1F03C
	v_add_u32_e32 v249, s60, v249                              // 000000005A58: 69F3F23C
	v_add_u32_e32 v250, s60, v250                              // 000000005A5C: 69F5F43C
	v_add_u32_e32 v251, s60, v251                              // 000000005A60: 69F7F63C
	v_mov_b32_e32 v196, 0                                      // 000000005A64: 7F880280
	s_mov_b64 exec, s[80:81]                                   // 000000005A68: BEFE0150
	buffer_load_dword v196, v248, s[16:19], 0 idxen            // 000000005A6C: E0502000 8004C4F8
	s_mov_b32 exec_lo, -1                                      // 000000005A74: BEFE00C1
	s_mov_b32 exec_hi, -1                                      // 000000005A78: BEFF00C1
	v_mov_b32_e32 v197, 0                                      // 000000005A7C: 7F8A0280
	s_mov_b64 exec, s[80:81]                                   // 000000005A80: BEFE0150
	buffer_load_dword v197, v249, s[16:19], 0 idxen            // 000000005A84: E0502000 8004C5F9
	s_mov_b32 exec_lo, -1                                      // 000000005A8C: BEFE00C1
	s_mov_b32 exec_hi, -1                                      // 000000005A90: BEFF00C1
	v_mov_b32_e32 v198, 0                                      // 000000005A94: 7F8C0280
	s_mov_b64 exec, s[80:81]                                   // 000000005A98: BEFE0150
	buffer_load_dword v198, v250, s[16:19], 0 idxen            // 000000005A9C: E0502000 8004C6FA
	s_mov_b32 exec_lo, -1                                      // 000000005AA4: BEFE00C1
	s_mov_b32 exec_hi, -1                                      // 000000005AA8: BEFF00C1
	v_mov_b32_e32 v199, 0                                      // 000000005AAC: 7F8E0280
	s_mov_b64 exec, s[80:81]                                   // 000000005AB0: BEFE0150
	buffer_load_dword v199, v251, s[16:19], 0 idxen            // 000000005AB4: E0502000 8004C7FB
	s_mov_b32 exec_lo, -1                                      // 000000005ABC: BEFE00C1
	s_mov_b32 exec_hi, -1                                      // 000000005AC0: BEFF00C1
	s_mul_i32 s60, 4, s7                                       // 000000005AC4: 923C0784
	s_cmp_lt_i32 3, s72                                        // 000000005AC8: BF044883
	s_cselect_b32 s60, s60, 0                                  // 000000005ACC: 853C803C
	v_add_u32_e32 v248, s60, v248                              // 000000005AD0: 69F1F03C
	v_add_u32_e32 v249, s60, v249                              // 000000005AD4: 69F3F23C
	v_add_u32_e32 v250, s60, v250                              // 000000005AD8: 69F5F43C
	v_add_u32_e32 v251, s60, v251                              // 000000005ADC: 69F7F63C
	s_waitcnt lgkmcnt(0)                                       // 000000005AE0: BF8CC07F
	s_barrier                                                  // 000000005AE4: BF8A0000
	ds_read_b128 a[80:83], v23 offset:17408                    // 000000005AE8: DBFE4400 50000017
	ds_read_b128 a[84:87], v23 offset:17664                    // 000000005AF0: DBFE4500 54000017
	ds_read_b128 a[88:91], v23 offset:26112                    // 000000005AF8: DBFE6600 58000017
	ds_read_b128 a[92:95], v23 offset:26368                    // 000000005B00: DBFE6700 5C000017
	ds_read_b128 a[32:35], v22                                 // 000000005B08: DBFE0000 20000016
	ds_read_b128 a[36:39], v22 offset:512                      // 000000005B10: DBFE0200 24000016
	ds_read_b128 a[40:43], v22 offset:2176                     // 000000005B18: DBFE0880 28000016
	ds_read_b128 a[44:47], v22 offset:2688                     // 000000005B20: DBFE0A80 2C000016
	s_waitcnt vmcnt(32) lgkmcnt(0)                             // 000000005B28: BF8C8070
	s_barrier                                                  // 000000005B2C: BF8A0000
	s_cmp_lt_i32 0, s72                                        // 000000005B30: BF044880
	s_cbranch_scc1 label_075E                                  // 000000005B34: BF850010
	v_mov_b32_e32 v152, 0                                      // 000000005B38: 7F300280
	v_mov_b32_e32 v153, 0                                      // 000000005B3C: 7F320280
	v_mov_b32_e32 v154, 0                                      // 000000005B40: 7F340280
	v_mov_b32_e32 v155, 0                                      // 000000005B44: 7F360280
	v_mov_b32_e32 v156, 0                                      // 000000005B48: 7F380280
	v_mov_b32_e32 v157, 0                                      // 000000005B4C: 7F3A0280
	v_mov_b32_e32 v158, 0                                      // 000000005B50: 7F3C0280
	v_mov_b32_e32 v159, 0                                      // 000000005B54: 7F3E0280
	v_mov_b32_e32 v160, 0                                      // 000000005B58: 7F400280
	v_mov_b32_e32 v161, 0                                      // 000000005B5C: 7F420280
	v_mov_b32_e32 v162, 0                                      // 000000005B60: 7F440280
	v_mov_b32_e32 v163, 0                                      // 000000005B64: 7F460280
	v_mov_b32_e32 v164, 0                                      // 000000005B68: 7F480280
	v_mov_b32_e32 v165, 0                                      // 000000005B6C: 7F4A0280
	v_mov_b32_e32 v166, 0                                      // 000000005B70: 7F4C0280
	v_mov_b32_e32 v167, 0                                      // 000000005B74: 7F4E0280

0000000000005b78 <label_075E>:
	ds_write_b32 v11, v152                                     // 000000005B78: D81A0000 0000980B
	ds_write_b32 v11, v153 offset:1056                         // 000000005B80: D81A0420 0000990B
	ds_write_b32 v11, v154 offset:128                          // 000000005B88: D81A0080 00009A0B
	ds_write_b32 v11, v155 offset:1184                         // 000000005B90: D81A04A0 00009B0B
	ds_write_b32 v11, v156 offset:4352                         // 000000005B98: D81A1100 00009C0B
	ds_write_b32 v11, v157 offset:5408                         // 000000005BA0: D81A1520 00009D0B
	ds_write_b32 v11, v158 offset:4480                         // 000000005BA8: D81A1180 00009E0B
	ds_write_b32 v11, v159 offset:5536                         // 000000005BB0: D81A15A0 00009F0B
	ds_write_b32 v11, v160 offset:8704                         // 000000005BB8: D81A2200 0000A00B
	ds_write_b32 v11, v161 offset:9760                         // 000000005BC0: D81A2620 0000A10B
	ds_write_b32 v11, v162 offset:8832                         // 000000005BC8: D81A2280 0000A20B
	ds_write_b32 v11, v163 offset:9888                         // 000000005BD0: D81A26A0 0000A30B
	ds_write_b32 v11, v164 offset:13056                        // 000000005BD8: D81A3300 0000A40B
	ds_write_b32 v11, v165 offset:14112                        // 000000005BE0: D81A3720 0000A50B
	ds_write_b32 v11, v166 offset:13184                        // 000000005BE8: D81A3380 0000A60B
	ds_write_b32 v11, v167 offset:14240                        // 000000005BF0: D81A37A0 0000A70B
	s_mov_b32 s71, s5                                          // 000000005BF8: BEC70005
	v_lshrrev_b32_e32 v28, 4, v0                               // 000000005BFC: 20380084
	v_and_b32_e32 v29, 1, v28                                  // 000000005C00: 263A3881
	v_lshlrev_b32_e32 v29, 1, v29                              // 000000005C04: 243A3A81
	v_mul_i32_i24_e32 v29, s71, v29                            // 000000005C08: 0C3A3A47
	v_and_b32_e32 v30, 2, v28                                  // 000000005C0C: 263C3882
	v_lshlrev_b32_e32 v30, 5, v30                              // 000000005C10: 243C3C85
	v_add_u32_e32 v29, v30, v29                                // 000000005C14: 683A3B1E
	v_and_b32_e32 v28, 15, v0                                  // 000000005C18: 2638008F
	v_lshlrev_b32_e32 v28, 2, v28                              // 000000005C1C: 24383882
	v_add_u32_e32 v1, v28, v29                                 // 000000005C20: 68023B1C
	s_and_b32 s60, 1, s46                                      // 000000005C24: 863C2E81
	s_mul_i32 s60, s60, s71                                    // 000000005C28: 923C473C
	s_mul_i32 s60, s60, 8                                      // 000000005C2C: 923C883C
	s_lshr_b32 s61, s46, 1                                     // 000000005C30: 8F3D812E
	s_mul_i32 s61, s61, 0x80                                   // 000000005C34: 923DFF3D 00000080
	s_add_u32 s60, s60, s61                                    // 000000005C3C: 803C3D3C
	v_add_u32_e32 v1, s60, v1                                  // 000000005C40: 6802023C
	v_add_u32_e32 v2, s71, v1                                  // 000000005C44: 68040247
	s_mul_i32 s60, 4, s71                                      // 000000005C48: 923C4784
	v_add_u32_e32 v3, s60, v1                                  // 000000005C4C: 6806023C
	v_add_u32_e32 v4, s60, v2                                  // 000000005C50: 6808043C
	s_mov_b32 s71, s51                                         // 000000005C54: BEC70033
	v_lshrrev_b32_e32 v28, 4, v0                               // 000000005C58: 20380084
	v_and_b32_e32 v29, 1, v28                                  // 000000005C5C: 263A3881
	v_lshlrev_b32_e32 v29, 1, v29                              // 000000005C60: 243A3A81
	v_mul_i32_i24_e32 v29, s71, v29                            // 000000005C64: 0C3A3A47
	v_and_b32_e32 v30, 2, v28                                  // 000000005C68: 263C3882
	v_lshlrev_b32_e32 v30, 5, v30                              // 000000005C6C: 243C3C85
	v_add_u32_e32 v29, v30, v29                                // 000000005C70: 683A3B1E
	v_and_b32_e32 v28, 15, v0                                  // 000000005C74: 2638008F
	v_lshlrev_b32_e32 v28, 2, v28                              // 000000005C78: 24383882
	v_add_u32_e32 v248, v28, v29                               // 000000005C7C: 69F03B1C
	s_and_b32 s60, 1, s46                                      // 000000005C80: 863C2E81
	s_mul_i32 s60, s60, s71                                    // 000000005C84: 923C473C
	s_mul_i32 s60, s60, 8                                      // 000000005C88: 923C883C
	s_lshr_b32 s61, s46, 1                                     // 000000005C8C: 8F3D812E
	s_mul_i32 s61, s61, 0x80                                   // 000000005C90: 923DFF3D 00000080
	s_add_u32 s60, s60, s61                                    // 000000005C98: 803C3D3C
	v_add_u32_e32 v248, s60, v248                              // 000000005C9C: 69F1F03C
	v_add_u32_e32 v249, s71, v248                              // 000000005CA0: 69F3F047
	s_mul_i32 s60, 4, s71                                      // 000000005CA4: 923C4784
	v_add_u32_e32 v250, s60, v248                              // 000000005CA8: 69F5F03C
	v_add_u32_e32 v251, s60, v249                              // 000000005CAC: 69F7F23C
	v_lshrrev_b32_e32 v1, 2, v1                                // 000000005CB0: 20020282
	v_lshrrev_b32_e32 v2, 2, v2                                // 000000005CB4: 20040482
	v_lshrrev_b32_e32 v3, 2, v3                                // 000000005CB8: 20060682
	v_lshrrev_b32_e32 v4, 2, v4                                // 000000005CBC: 20080882
	v_lshrrev_b32_e32 v248, 2, v248                            // 000000005CC0: 21F1F082
	v_lshrrev_b32_e32 v249, 2, v249                            // 000000005CC4: 21F3F282
	v_lshrrev_b32_e32 v250, 2, v250                            // 000000005CC8: 21F5F482
	v_lshrrev_b32_e32 v251, 2, v251                            // 000000005CCC: 21F7F682
	v_mov_b32_e32 v32, 0                                       // 000000005CD0: 7E400280
	s_mov_b64 exec, s[80:81]                                   // 000000005CD4: BEFE0150
	buffer_load_dword v32, v1, s[8:11], 0 idxen                // 000000005CD8: E0502000 80022001
	s_mov_b32 exec_lo, -1                                      // 000000005CE0: BEFE00C1
	s_mov_b32 exec_hi, -1                                      // 000000005CE4: BEFF00C1
	v_mov_b32_e32 v33, 0                                       // 000000005CE8: 7E420280
	s_mov_b64 exec, s[80:81]                                   // 000000005CEC: BEFE0150
	buffer_load_dword v33, v2, s[8:11], 0 idxen                // 000000005CF0: E0502000 80022102
	s_mov_b32 exec_lo, -1                                      // 000000005CF8: BEFE00C1
	s_mov_b32 exec_hi, -1                                      // 000000005CFC: BEFF00C1
	v_mov_b32_e32 v34, 0                                       // 000000005D00: 7E440280
	s_mov_b64 exec, s[80:81]                                   // 000000005D04: BEFE0150
	buffer_load_dword v34, v3, s[8:11], 0 idxen                // 000000005D08: E0502000 80022203
	s_mov_b32 exec_lo, -1                                      // 000000005D10: BEFE00C1
	s_mov_b32 exec_hi, -1                                      // 000000005D14: BEFF00C1
	v_mov_b32_e32 v35, 0                                       // 000000005D18: 7E460280
	s_mov_b64 exec, s[80:81]                                   // 000000005D1C: BEFE0150
	buffer_load_dword v35, v4, s[8:11], 0 idxen                // 000000005D20: E0502000 80022304
	s_mov_b32 exec_lo, -1                                      // 000000005D28: BEFE00C1
	s_mov_b32 exec_hi, -1                                      // 000000005D2C: BEFF00C1
	v_mov_b32_e32 v40, 0                                       // 000000005D30: 7E500280
	s_mov_b64 exec, s[80:81]                                   // 000000005D34: BEFE0150
	buffer_load_dword v40, v248, s[20:23], 0 idxen             // 000000005D38: E0502000 800528F8
	s_mov_b32 exec_lo, -1                                      // 000000005D40: BEFE00C1
	s_mov_b32 exec_hi, -1                                      // 000000005D44: BEFF00C1
	v_mov_b32_e32 v41, 0                                       // 000000005D48: 7E520280
	s_mov_b64 exec, s[80:81]                                   // 000000005D4C: BEFE0150
	buffer_load_dword v41, v249, s[20:23], 0 idxen             // 000000005D50: E0502000 800529F9
	s_mov_b32 exec_lo, -1                                      // 000000005D58: BEFE00C1
	s_mov_b32 exec_hi, -1                                      // 000000005D5C: BEFF00C1
	v_mov_b32_e32 v42, 0                                       // 000000005D60: 7E540280
	s_mov_b64 exec, s[80:81]                                   // 000000005D64: BEFE0150
	buffer_load_dword v42, v250, s[20:23], 0 idxen             // 000000005D68: E0502000 80052AFA
	s_mov_b32 exec_lo, -1                                      // 000000005D70: BEFE00C1
	s_mov_b32 exec_hi, -1                                      // 000000005D74: BEFF00C1
	v_mov_b32_e32 v43, 0                                       // 000000005D78: 7E560280
	s_mov_b64 exec, s[80:81]                                   // 000000005D7C: BEFE0150
	buffer_load_dword v43, v251, s[20:23], 0 idxen             // 000000005D80: E0502000 80052BFB
	s_mov_b32 exec_lo, -1                                      // 000000005D88: BEFE00C1
	s_mov_b32 exec_hi, -1                                      // 000000005D8C: BEFF00C1
	s_waitcnt lgkmcnt(0)                                       // 000000005D90: BF8CC07F
	s_barrier                                                  // 000000005D94: BF8A0000
	ds_read_b128 a[96:99], v22                                 // 000000005D98: DBFE0000 60000016
	ds_read_b128 a[100:103], v22 offset:512                    // 000000005DA0: DBFE0200 64000016
	ds_read_b128 a[104:107], v22 offset:2176                   // 000000005DA8: DBFE0880 68000016
	ds_read_b128 a[108:111], v22 offset:2688                   // 000000005DB0: DBFE0A80 6C000016
	v_add_u32_e32 v1, s68, v1                                  // 000000005DB8: 68020244
	v_add_u32_e32 v2, s68, v2                                  // 000000005DBC: 68040444
	v_add_u32_e32 v3, s68, v3                                  // 000000005DC0: 68060644
	v_add_u32_e32 v4, s68, v4                                  // 000000005DC4: 68080844
	v_add_u32_e32 v248, s100, v248                             // 000000005DC8: 69F1F064
	v_add_u32_e32 v249, s100, v249                             // 000000005DCC: 69F3F264
	v_add_u32_e32 v250, s100, v250                             // 000000005DD0: 69F5F464
	v_add_u32_e32 v251, s100, v251                             // 000000005DD4: 69F7F664
	s_waitcnt vmcnt(24) lgkmcnt(0)                             // 000000005DD8: BF8C4078
	s_barrier                                                  // 000000005DDC: BF8A0000
	s_cmp_lt_i32 1, s72                                        // 000000005DE0: BF044881
	s_cbranch_scc1 label_080A                                  // 000000005DE4: BF850010
	v_mov_b32_e32 v168, 0                                      // 000000005DE8: 7F500280
	v_mov_b32_e32 v169, 0                                      // 000000005DEC: 7F520280
	v_mov_b32_e32 v170, 0                                      // 000000005DF0: 7F540280
	v_mov_b32_e32 v171, 0                                      // 000000005DF4: 7F560280
	v_mov_b32_e32 v172, 0                                      // 000000005DF8: 7F580280
	v_mov_b32_e32 v173, 0                                      // 000000005DFC: 7F5A0280
	v_mov_b32_e32 v174, 0                                      // 000000005E00: 7F5C0280
	v_mov_b32_e32 v175, 0                                      // 000000005E04: 7F5E0280
	v_mov_b32_e32 v176, 0                                      // 000000005E08: 7F600280
	v_mov_b32_e32 v177, 0                                      // 000000005E0C: 7F620280
	v_mov_b32_e32 v178, 0                                      // 000000005E10: 7F640280
	v_mov_b32_e32 v179, 0                                      // 000000005E14: 7F660280
	v_mov_b32_e32 v180, 0                                      // 000000005E18: 7F680280
	v_mov_b32_e32 v181, 0                                      // 000000005E1C: 7F6A0280
	v_mov_b32_e32 v182, 0                                      // 000000005E20: 7F6C0280
	v_mov_b32_e32 v183, 0                                      // 000000005E24: 7F6E0280

0000000000005e28 <label_080A>:
	ds_write_b32 v11, v168                                     // 000000005E28: D81A0000 0000A80B
	ds_write_b32 v11, v169 offset:1056                         // 000000005E30: D81A0420 0000A90B
	ds_write_b32 v11, v170 offset:128                          // 000000005E38: D81A0080 0000AA0B
	ds_write_b32 v11, v171 offset:1184                         // 000000005E40: D81A04A0 0000AB0B
	ds_write_b32 v11, v172 offset:4352                         // 000000005E48: D81A1100 0000AC0B
	ds_write_b32 v11, v173 offset:5408                         // 000000005E50: D81A1520 0000AD0B
	ds_write_b32 v11, v174 offset:4480                         // 000000005E58: D81A1180 0000AE0B
	ds_write_b32 v11, v175 offset:5536                         // 000000005E60: D81A15A0 0000AF0B
	ds_write_b32 v11, v176 offset:8704                         // 000000005E68: D81A2200 0000B00B
	ds_write_b32 v11, v177 offset:9760                         // 000000005E70: D81A2620 0000B10B
	ds_write_b32 v11, v178 offset:8832                         // 000000005E78: D81A2280 0000B20B
	ds_write_b32 v11, v179 offset:9888                         // 000000005E80: D81A26A0 0000B30B
	ds_write_b32 v11, v180 offset:13056                        // 000000005E88: D81A3300 0000B40B
	ds_write_b32 v11, v181 offset:14112                        // 000000005E90: D81A3720 0000B50B
	ds_write_b32 v11, v182 offset:13184                        // 000000005E98: D81A3380 0000B60B
	ds_write_b32 v11, v183 offset:14240                        // 000000005EA0: D81A37A0 0000B70B
	v_mov_b32_e32 v36, 0                                       // 000000005EA8: 7E480280
	s_mov_b64 exec, s[80:81]                                   // 000000005EAC: BEFE0150
	buffer_load_dword v36, v1, s[8:11], 0 idxen                // 000000005EB0: E0502000 80022401
	s_mov_b32 exec_lo, -1                                      // 000000005EB8: BEFE00C1
	s_mov_b32 exec_hi, -1                                      // 000000005EBC: BEFF00C1
	v_mov_b32_e32 v37, 0                                       // 000000005EC0: 7E4A0280
	s_mov_b64 exec, s[80:81]                                   // 000000005EC4: BEFE0150
	buffer_load_dword v37, v2, s[8:11], 0 idxen                // 000000005EC8: E0502000 80022502
	s_mov_b32 exec_lo, -1                                      // 000000005ED0: BEFE00C1
	s_mov_b32 exec_hi, -1                                      // 000000005ED4: BEFF00C1
	v_mov_b32_e32 v38, 0                                       // 000000005ED8: 7E4C0280
	s_mov_b64 exec, s[80:81]                                   // 000000005EDC: BEFE0150
	buffer_load_dword v38, v3, s[8:11], 0 idxen                // 000000005EE0: E0502000 80022603
	s_mov_b32 exec_lo, -1                                      // 000000005EE8: BEFE00C1
	s_mov_b32 exec_hi, -1                                      // 000000005EEC: BEFF00C1
	v_mov_b32_e32 v39, 0                                       // 000000005EF0: 7E4E0280
	s_mov_b64 exec, s[80:81]                                   // 000000005EF4: BEFE0150
	buffer_load_dword v39, v4, s[8:11], 0 idxen                // 000000005EF8: E0502000 80022704
	s_mov_b32 exec_lo, -1                                      // 000000005F00: BEFE00C1
	s_mov_b32 exec_hi, -1                                      // 000000005F04: BEFF00C1
	v_mov_b32_e32 v44, 0                                       // 000000005F08: 7E580280
	s_mov_b64 exec, s[80:81]                                   // 000000005F0C: BEFE0150
	buffer_load_dword v44, v248, s[20:23], 0 idxen             // 000000005F10: E0502000 80052CF8
	s_mov_b32 exec_lo, -1                                      // 000000005F18: BEFE00C1
	s_mov_b32 exec_hi, -1                                      // 000000005F1C: BEFF00C1
	v_mov_b32_e32 v45, 0                                       // 000000005F20: 7E5A0280
	s_mov_b64 exec, s[80:81]                                   // 000000005F24: BEFE0150
	buffer_load_dword v45, v249, s[20:23], 0 idxen             // 000000005F28: E0502000 80052DF9
	s_mov_b32 exec_lo, -1                                      // 000000005F30: BEFE00C1
	s_mov_b32 exec_hi, -1                                      // 000000005F34: BEFF00C1
	v_mov_b32_e32 v46, 0                                       // 000000005F38: 7E5C0280
	s_mov_b64 exec, s[80:81]                                   // 000000005F3C: BEFE0150
	buffer_load_dword v46, v250, s[20:23], 0 idxen             // 000000005F40: E0502000 80052EFA
	s_mov_b32 exec_lo, -1                                      // 000000005F48: BEFE00C1
	s_mov_b32 exec_hi, -1                                      // 000000005F4C: BEFF00C1
	v_mov_b32_e32 v47, 0                                       // 000000005F50: 7E5E0280
	s_mov_b64 exec, s[80:81]                                   // 000000005F54: BEFE0150
	buffer_load_dword v47, v251, s[20:23], 0 idxen             // 000000005F58: E0502000 80052FFB
	s_mov_b32 exec_lo, -1                                      // 000000005F60: BEFE00C1
	s_mov_b32 exec_hi, -1                                      // 000000005F64: BEFF00C1
	s_waitcnt lgkmcnt(0)                                       // 000000005F68: BF8CC07F
	s_barrier                                                  // 000000005F6C: BF8A0000
	ds_read_b128 a[112:115], v22                               // 000000005F70: DBFE0000 70000016
	ds_read_b128 a[116:119], v22 offset:512                    // 000000005F78: DBFE0200 74000016
	ds_read_b128 a[120:123], v22 offset:2176                   // 000000005F80: DBFE0880 78000016
	ds_read_b128 a[124:127], v22 offset:2688                   // 000000005F88: DBFE0A80 7C000016
	v_add_u32_e32 v1, s68, v1                                  // 000000005F90: 68020244
	v_add_u32_e32 v2, s68, v2                                  // 000000005F94: 68040444
	v_add_u32_e32 v3, s68, v3                                  // 000000005F98: 68060644
	v_add_u32_e32 v4, s68, v4                                  // 000000005F9C: 68080844
	v_add_u32_e32 v248, s100, v248                             // 000000005FA0: 69F1F064
	v_add_u32_e32 v249, s100, v249                             // 000000005FA4: 69F3F264
	v_add_u32_e32 v250, s100, v250                             // 000000005FA8: 69F5F464
	v_add_u32_e32 v251, s100, v251                             // 000000005FAC: 69F7F664
	s_waitcnt vmcnt(16) lgkmcnt(0)                             // 000000005FB0: BF8C4070
	s_barrier                                                  // 000000005FB4: BF8A0000
	s_cmp_lt_i32 2, s72                                        // 000000005FB8: BF044882
	s_cbranch_scc1 label_0880                                  // 000000005FBC: BF850010
	v_mov_b32_e32 v184, 0                                      // 000000005FC0: 7F700280
	v_mov_b32_e32 v185, 0                                      // 000000005FC4: 7F720280
	v_mov_b32_e32 v186, 0                                      // 000000005FC8: 7F740280
	v_mov_b32_e32 v187, 0                                      // 000000005FCC: 7F760280
	v_mov_b32_e32 v188, 0                                      // 000000005FD0: 7F780280
	v_mov_b32_e32 v189, 0                                      // 000000005FD4: 7F7A0280
	v_mov_b32_e32 v190, 0                                      // 000000005FD8: 7F7C0280
	v_mov_b32_e32 v191, 0                                      // 000000005FDC: 7F7E0280
	v_mov_b32_e32 v192, 0                                      // 000000005FE0: 7F800280
	v_mov_b32_e32 v193, 0                                      // 000000005FE4: 7F820280
	v_mov_b32_e32 v194, 0                                      // 000000005FE8: 7F840280
	v_mov_b32_e32 v195, 0                                      // 000000005FEC: 7F860280
	v_mov_b32_e32 v196, 0                                      // 000000005FF0: 7F880280
	v_mov_b32_e32 v197, 0                                      // 000000005FF4: 7F8A0280
	v_mov_b32_e32 v198, 0                                      // 000000005FF8: 7F8C0280
	v_mov_b32_e32 v199, 0                                      // 000000005FFC: 7F8E0280

0000000000006000 <label_0880>:
	ds_write_b32 v11, v184                                     // 000000006000: D81A0000 0000B80B
	ds_write_b32 v11, v185 offset:1056                         // 000000006008: D81A0420 0000B90B
	ds_write_b32 v11, v186 offset:128                          // 000000006010: D81A0080 0000BA0B
	ds_write_b32 v11, v187 offset:1184                         // 000000006018: D81A04A0 0000BB0B
	ds_write_b32 v11, v188 offset:4352                         // 000000006020: D81A1100 0000BC0B
	ds_write_b32 v11, v189 offset:5408                         // 000000006028: D81A1520 0000BD0B
	ds_write_b32 v11, v190 offset:4480                         // 000000006030: D81A1180 0000BE0B
	ds_write_b32 v11, v191 offset:5536                         // 000000006038: D81A15A0 0000BF0B
	ds_write_b32 v11, v192 offset:8704                         // 000000006040: D81A2200 0000C00B
	ds_write_b32 v11, v193 offset:9760                         // 000000006048: D81A2620 0000C10B
	ds_write_b32 v11, v194 offset:8832                         // 000000006050: D81A2280 0000C20B
	ds_write_b32 v11, v195 offset:9888                         // 000000006058: D81A26A0 0000C30B
	ds_write_b32 v11, v196 offset:13056                        // 000000006060: D81A3300 0000C40B
	ds_write_b32 v11, v197 offset:14112                        // 000000006068: D81A3720 0000C50B
	ds_write_b32 v11, v198 offset:13184                        // 000000006070: D81A3380 0000C60B
	ds_write_b32 v11, v199 offset:14240                        // 000000006078: D81A37A0 0000C70B
	s_waitcnt lgkmcnt(0)                                       // 000000006080: BF8CC07F
	s_barrier                                                  // 000000006084: BF8A0000
	ds_read_b128 a[128:131], v22                               // 000000006088: DBFE0000 80000016
	ds_read_b128 a[132:135], v22 offset:512                    // 000000006090: DBFE0200 84000016
	ds_read_b128 a[136:139], v22 offset:2176                   // 000000006098: DBFE0880 88000016
	ds_read_b128 a[140:143], v22 offset:2688                   // 0000000060A0: DBFE0A80 8C000016
	s_waitcnt vmcnt(8) lgkmcnt(0)                              // 0000000060A8: BF8C0078
	s_barrier                                                  // 0000000060AC: BF8A0000
	buffer_load_dword v9, s[24:27], 0 idxen lds                // 0000000060B0: E0512000 80060009
	s_mov_b32 m0, s79                                          // 0000000060B8: BEFC004F
	v_add_u32_e32 v9, s69, v9                                  // 0000000060BC: 68121245
	v_perm_b32 v84, v33, v32, s63                              // 0000000060C0: D1ED0054 00FE4121
	v_perm_b32 v85, v33, v32, s64                              // 0000000060C8: D1ED0055 01024121
	v_perm_b32 v86, v35, v34, s63                              // 0000000060D0: D1ED0056 00FE4523
	v_perm_b32 v87, v35, v34, s64                              // 0000000060D8: D1ED0057 01024523
	ds_write_b32 v13, v84 offset:4352                          // 0000000060E0: D81A1100 0000540D
	ds_write_b32 v13, v85 offset:5408                          // 0000000060E8: D81A1520 0000550D
	ds_write_b32 v13, v86 offset:4480                          // 0000000060F0: D81A1180 0000560D
	ds_write_b32 v13, v87 offset:5536                          // 0000000060F8: D81A15A0 0000570D
	ds_write_b32 v11, v32                                      // 000000006100: D81A0000 0000200B
	ds_write_b32 v11, v33 offset:1056                          // 000000006108: D81A0420 0000210B
	ds_write_b32 v11, v34 offset:128                           // 000000006110: D81A0080 0000220B
	ds_write_b32 v11, v35 offset:1184                          // 000000006118: D81A04A0 0000230B
	buffer_load_dword v9, s[24:27], 0 idxen lds                // 000000006120: E0512000 80060009
	s_mov_b32 m0, s78                                          // 000000006128: BEFC004E
	v_add_u32_e32 v9, s69, v9                                  // 00000000612C: 68121245
	v_perm_b32 v88, v41, v40, s63                              // 000000006130: D1ED0058 00FE5129
	v_perm_b32 v89, v41, v40, s64                              // 000000006138: D1ED0059 01025129
	v_perm_b32 v90, v43, v42, s63                              // 000000006140: D1ED005A 00FE552B
	v_perm_b32 v91, v43, v42, s64                              // 000000006148: D1ED005B 0102552B
	ds_write_b32 v13, v88 offset:13056                         // 000000006150: D81A3300 0000580D
	ds_write_b32 v13, v89 offset:14112                         // 000000006158: D81A3720 0000590D
	ds_write_b32 v13, v90 offset:13184                         // 000000006160: D81A3380 00005A0D
	ds_write_b32 v13, v91 offset:14240                         // 000000006168: D81A37A0 00005B0D
	ds_write_b32 v11, v40 offset:8704                          // 000000006170: D81A2200 0000280B
	ds_write_b32 v11, v41 offset:9760                          // 000000006178: D81A2620 0000290B
	ds_write_b32 v11, v42 offset:8832                          // 000000006180: D81A2280 00002A0B
	ds_write_b32 v11, v43 offset:9888                          // 000000006188: D81A26A0 00002B0B
	s_waitcnt vmcnt(1) lgkmcnt(0)                              // 000000006190: BF8C0071
	s_barrier                                                  // 000000006194: BF8A0000
	ds_read_b128 a[144:147], v10                               // 000000006198: DBFE0000 9000000A
	ds_read_b128 a[148:151], v10 offset:512                    // 0000000061A0: DBFE0200 9400000A
	ds_read_b128 a[152:155], v10 offset:2176                   // 0000000061A8: DBFE0880 9800000A
	ds_read_b128 a[156:159], v10 offset:2688                   // 0000000061B0: DBFE0A80 9C00000A
	ds_read_b128 v[92:95], v10 offset:8704                     // 0000000061B8: D9FE2200 5C00000A
	ds_read_b128 v[96:99], v10 offset:9216                     // 0000000061C0: D9FE2400 6000000A
	ds_read_b128 v[100:103], v10 offset:10880                  // 0000000061C8: D9FE2A80 6400000A
	ds_read_b128 v[104:107], v10 offset:11392                  // 0000000061D0: D9FE2C80 6800000A
	ds_read_b32 v124, v21 offset:50688                         // 0000000061D8: D86CC600 7C000015
	ds_read_b32 v150, v21 offset:50944                         // 0000000061E0: D86CC700 96000015
	v_accvgpr_write_b32 a160, 0                                // 0000000061E8: D3D940A0 18000080
	v_mov_b32_e32 v152, 0                                      // 0000000061F0: 7F300280
	v_accvgpr_write_b32 a161, 0                                // 0000000061F4: D3D940A1 18000080
	v_mov_b32_e32 v153, 0                                      // 0000000061FC: 7F320280
	v_accvgpr_write_b32 a162, 0                                // 000000006200: D3D940A2 18000080
	v_mov_b32_e32 v154, 0                                      // 000000006208: 7F340280
	v_accvgpr_write_b32 a163, 0                                // 00000000620C: D3D940A3 18000080
	v_mov_b32_e32 v155, 0                                      // 000000006214: 7F360280
	v_accvgpr_write_b32 a164, 0                                // 000000006218: D3D940A4 18000080
	v_mov_b32_e32 v156, 0                                      // 000000006220: 7F380280
	v_accvgpr_write_b32 a165, 0                                // 000000006224: D3D940A5 18000080
	v_mov_b32_e32 v157, 0                                      // 00000000622C: 7F3A0280
	v_accvgpr_write_b32 a166, 0                                // 000000006230: D3D940A6 18000080
	v_mov_b32_e32 v158, 0                                      // 000000006238: 7F3C0280
	v_accvgpr_write_b32 a167, 0                                // 00000000623C: D3D940A7 18000080
	v_mov_b32_e32 v159, 0                                      // 000000006244: 7F3E0280
	v_accvgpr_write_b32 a168, 0                                // 000000006248: D3D940A8 18000080
	v_mov_b32_e32 v160, 0                                      // 000000006250: 7F400280
	v_accvgpr_write_b32 a169, 0                                // 000000006254: D3D940A9 18000080
	v_mov_b32_e32 v161, 0                                      // 00000000625C: 7F420280
	v_accvgpr_write_b32 a170, 0                                // 000000006260: D3D940AA 18000080
	v_mov_b32_e32 v162, 0                                      // 000000006268: 7F440280
	v_accvgpr_write_b32 a171, 0                                // 00000000626C: D3D940AB 18000080
	v_mov_b32_e32 v163, 0                                      // 000000006274: 7F460280
	v_accvgpr_write_b32 a172, 0                                // 000000006278: D3D940AC 18000080
	v_mov_b32_e32 v164, 0                                      // 000000006280: 7F480280
	v_accvgpr_write_b32 a173, 0                                // 000000006284: D3D940AD 18000080
	v_mov_b32_e32 v165, 0                                      // 00000000628C: 7F4A0280
	v_accvgpr_write_b32 a174, 0                                // 000000006290: D3D940AE 18000080
	v_mov_b32_e32 v166, 0                                      // 000000006298: 7F4C0280
	v_accvgpr_write_b32 a175, 0                                // 00000000629C: D3D940AF 18000080
	v_mov_b32_e32 v167, 0                                      // 0000000062A4: 7F4E0280
	v_accvgpr_write_b32 a176, 0                                // 0000000062A8: D3D940B0 18000080
	v_mov_b32_e32 v168, 0                                      // 0000000062B0: 7F500280
	v_accvgpr_write_b32 a177, 0                                // 0000000062B4: D3D940B1 18000080
	v_mov_b32_e32 v169, 0                                      // 0000000062BC: 7F520280
	v_accvgpr_write_b32 a178, 0                                // 0000000062C0: D3D940B2 18000080
	v_mov_b32_e32 v170, 0                                      // 0000000062C8: 7F540280
	v_accvgpr_write_b32 a179, 0                                // 0000000062CC: D3D940B3 18000080
	v_mov_b32_e32 v171, 0                                      // 0000000062D4: 7F560280
	v_accvgpr_write_b32 a180, 0                                // 0000000062D8: D3D940B4 18000080
	v_mov_b32_e32 v172, 0                                      // 0000000062E0: 7F580280
	v_accvgpr_write_b32 a181, 0                                // 0000000062E4: D3D940B5 18000080
	v_mov_b32_e32 v173, 0                                      // 0000000062EC: 7F5A0280
	v_accvgpr_write_b32 a182, 0                                // 0000000062F0: D3D940B6 18000080
	v_mov_b32_e32 v174, 0                                      // 0000000062F8: 7F5C0280
	v_accvgpr_write_b32 a183, 0                                // 0000000062FC: D3D940B7 18000080
	v_mov_b32_e32 v175, 0                                      // 000000006304: 7F5E0280
	v_accvgpr_write_b32 a184, 0                                // 000000006308: D3D940B8 18000080
	v_mov_b32_e32 v176, 0                                      // 000000006310: 7F600280
	v_accvgpr_write_b32 a185, 0                                // 000000006314: D3D940B9 18000080
	v_mov_b32_e32 v177, 0                                      // 00000000631C: 7F620280
	v_accvgpr_write_b32 a186, 0                                // 000000006320: D3D940BA 18000080
	v_mov_b32_e32 v178, 0                                      // 000000006328: 7F640280
	v_accvgpr_write_b32 a187, 0                                // 00000000632C: D3D940BB 18000080
	v_mov_b32_e32 v179, 0                                      // 000000006334: 7F660280
	v_accvgpr_write_b32 a188, 0                                // 000000006338: D3D940BC 18000080
	v_mov_b32_e32 v180, 0                                      // 000000006340: 7F680280
	v_accvgpr_write_b32 a189, 0                                // 000000006344: D3D940BD 18000080
	v_mov_b32_e32 v181, 0                                      // 00000000634C: 7F6A0280
	v_accvgpr_write_b32 a190, 0                                // 000000006350: D3D940BE 18000080
	v_mov_b32_e32 v182, 0                                      // 000000006358: 7F6C0280
	v_accvgpr_write_b32 a191, 0                                // 00000000635C: D3D940BF 18000080
	v_mov_b32_e32 v183, 0                                      // 000000006364: 7F6E0280
	v_accvgpr_write_b32 a192, 0                                // 000000006368: D3D940C0 18000080
	v_mov_b32_e32 v184, 0                                      // 000000006370: 7F700280
	v_accvgpr_write_b32 a193, 0                                // 000000006374: D3D940C1 18000080
	v_mov_b32_e32 v185, 0                                      // 00000000637C: 7F720280
	v_accvgpr_write_b32 a194, 0                                // 000000006380: D3D940C2 18000080
	v_mov_b32_e32 v186, 0                                      // 000000006388: 7F740280
	v_accvgpr_write_b32 a195, 0                                // 00000000638C: D3D940C3 18000080
	v_mov_b32_e32 v187, 0                                      // 000000006394: 7F760280
	v_accvgpr_write_b32 a196, 0                                // 000000006398: D3D940C4 18000080
	v_mov_b32_e32 v188, 0                                      // 0000000063A0: 7F780280
	v_accvgpr_write_b32 a197, 0                                // 0000000063A4: D3D940C5 18000080
	v_mov_b32_e32 v189, 0                                      // 0000000063AC: 7F7A0280
	v_accvgpr_write_b32 a198, 0                                // 0000000063B0: D3D940C6 18000080
	v_mov_b32_e32 v190, 0                                      // 0000000063B8: 7F7C0280
	v_accvgpr_write_b32 a199, 0                                // 0000000063BC: D3D940C7 18000080
	v_mov_b32_e32 v191, 0                                      // 0000000063C4: 7F7E0280
	v_accvgpr_write_b32 a200, 0                                // 0000000063C8: D3D940C8 18000080
	v_mov_b32_e32 v192, 0                                      // 0000000063D0: 7F800280
	v_accvgpr_write_b32 a201, 0                                // 0000000063D4: D3D940C9 18000080
	v_mov_b32_e32 v193, 0                                      // 0000000063DC: 7F820280
	v_accvgpr_write_b32 a202, 0                                // 0000000063E0: D3D940CA 18000080
	v_mov_b32_e32 v194, 0                                      // 0000000063E8: 7F840280
	v_accvgpr_write_b32 a203, 0                                // 0000000063EC: D3D940CB 18000080
	v_mov_b32_e32 v195, 0                                      // 0000000063F4: 7F860280
	v_accvgpr_write_b32 a204, 0                                // 0000000063F8: D3D940CC 18000080
	v_mov_b32_e32 v196, 0                                      // 000000006400: 7F880280
	v_accvgpr_write_b32 a205, 0                                // 000000006404: D3D940CD 18000080
	v_mov_b32_e32 v197, 0                                      // 00000000640C: 7F8A0280
	v_accvgpr_write_b32 a206, 0                                // 000000006410: D3D940CE 18000080
	v_mov_b32_e32 v198, 0                                      // 000000006418: 7F8C0280
	v_accvgpr_write_b32 a207, 0                                // 00000000641C: D3D940CF 18000080
	v_mov_b32_e32 v199, 0                                      // 000000006424: 7F8E0280
	v_accvgpr_write_b32 a208, 0                                // 000000006428: D3D940D0 18000080
	v_mov_b32_e32 v200, 0                                      // 000000006430: 7F900280
	v_accvgpr_write_b32 a209, 0                                // 000000006434: D3D940D1 18000080
	v_mov_b32_e32 v201, 0                                      // 00000000643C: 7F920280
	v_accvgpr_write_b32 a210, 0                                // 000000006440: D3D940D2 18000080
	v_mov_b32_e32 v202, 0                                      // 000000006448: 7F940280
	v_accvgpr_write_b32 a211, 0                                // 00000000644C: D3D940D3 18000080
	v_mov_b32_e32 v203, 0                                      // 000000006454: 7F960280
	v_accvgpr_write_b32 a212, 0                                // 000000006458: D3D940D4 18000080
	v_mov_b32_e32 v204, 0                                      // 000000006460: 7F980280
	v_accvgpr_write_b32 a213, 0                                // 000000006464: D3D940D5 18000080
	v_mov_b32_e32 v205, 0                                      // 00000000646C: 7F9A0280
	v_accvgpr_write_b32 a214, 0                                // 000000006470: D3D940D6 18000080
	v_mov_b32_e32 v206, 0                                      // 000000006478: 7F9C0280
	v_accvgpr_write_b32 a215, 0                                // 00000000647C: D3D940D7 18000080
	v_mov_b32_e32 v207, 0                                      // 000000006484: 7F9E0280
	v_accvgpr_write_b32 a216, 0                                // 000000006488: D3D940D8 18000080
	v_mov_b32_e32 v208, 0                                      // 000000006490: 7FA00280
	v_accvgpr_write_b32 a217, 0                                // 000000006494: D3D940D9 18000080
	v_mov_b32_e32 v209, 0                                      // 00000000649C: 7FA20280
	v_accvgpr_write_b32 a218, 0                                // 0000000064A0: D3D940DA 18000080
	v_mov_b32_e32 v210, 0                                      // 0000000064A8: 7FA40280
	v_accvgpr_write_b32 a219, 0                                // 0000000064AC: D3D940DB 18000080
	v_mov_b32_e32 v211, 0                                      // 0000000064B4: 7FA60280
	v_accvgpr_write_b32 a220, 0                                // 0000000064B8: D3D940DC 18000080
	v_mov_b32_e32 v212, 0                                      // 0000000064C0: 7FA80280
	v_accvgpr_write_b32 a221, 0                                // 0000000064C4: D3D940DD 18000080
	v_mov_b32_e32 v213, 0                                      // 0000000064CC: 7FAA0280
	v_accvgpr_write_b32 a222, 0                                // 0000000064D0: D3D940DE 18000080
	v_mov_b32_e32 v214, 0                                      // 0000000064D8: 7FAC0280
	v_accvgpr_write_b32 a223, 0                                // 0000000064DC: D3D940DF 18000080
	v_mov_b32_e32 v215, 0                                      // 0000000064E4: 7FAE0280
	v_accvgpr_write_b32 a224, 0                                // 0000000064E8: D3D940E0 18000080
	v_mov_b32_e32 v216, 0                                      // 0000000064F0: 7FB00280
	v_accvgpr_write_b32 a225, 0                                // 0000000064F4: D3D940E1 18000080
	v_mov_b32_e32 v217, 0                                      // 0000000064FC: 7FB20280
	v_accvgpr_write_b32 a226, 0                                // 000000006500: D3D940E2 18000080
	v_mov_b32_e32 v218, 0                                      // 000000006508: 7FB40280
	v_accvgpr_write_b32 a227, 0                                // 00000000650C: D3D940E3 18000080
	v_mov_b32_e32 v219, 0                                      // 000000006514: 7FB60280
	v_accvgpr_write_b32 a228, 0                                // 000000006518: D3D940E4 18000080
	v_mov_b32_e32 v220, 0                                      // 000000006520: 7FB80280
	v_accvgpr_write_b32 a229, 0                                // 000000006524: D3D940E5 18000080
	v_mov_b32_e32 v221, 0                                      // 00000000652C: 7FBA0280
	v_accvgpr_write_b32 a230, 0                                // 000000006530: D3D940E6 18000080
	v_mov_b32_e32 v222, 0                                      // 000000006538: 7FBC0280
	v_accvgpr_write_b32 a231, 0                                // 00000000653C: D3D940E7 18000080
	v_mov_b32_e32 v223, 0                                      // 000000006544: 7FBE0280
	v_accvgpr_write_b32 a232, 0                                // 000000006548: D3D940E8 18000080
	v_mov_b32_e32 v224, 0                                      // 000000006550: 7FC00280
	v_accvgpr_write_b32 a233, 0                                // 000000006554: D3D940E9 18000080
	v_mov_b32_e32 v225, 0                                      // 00000000655C: 7FC20280
	v_accvgpr_write_b32 a234, 0                                // 000000006560: D3D940EA 18000080
	v_mov_b32_e32 v226, 0                                      // 000000006568: 7FC40280
	v_accvgpr_write_b32 a235, 0                                // 00000000656C: D3D940EB 18000080
	v_mov_b32_e32 v227, 0                                      // 000000006574: 7FC60280
	v_accvgpr_write_b32 a236, 0                                // 000000006578: D3D940EC 18000080
	v_mov_b32_e32 v228, 0                                      // 000000006580: 7FC80280
	v_accvgpr_write_b32 a237, 0                                // 000000006584: D3D940ED 18000080
	v_mov_b32_e32 v229, 0                                      // 00000000658C: 7FCA0280
	v_accvgpr_write_b32 a238, 0                                // 000000006590: D3D940EE 18000080
	v_mov_b32_e32 v230, 0                                      // 000000006598: 7FCC0280
	v_accvgpr_write_b32 a239, 0                                // 00000000659C: D3D940EF 18000080
	v_mov_b32_e32 v231, 0                                      // 0000000065A4: 7FCE0280
	v_accvgpr_write_b32 a240, 0                                // 0000000065A8: D3D940F0 18000080
	v_mov_b32_e32 v232, 0                                      // 0000000065B0: 7FD00280
	v_accvgpr_write_b32 a241, 0                                // 0000000065B4: D3D940F1 18000080
	v_mov_b32_e32 v233, 0                                      // 0000000065BC: 7FD20280
	v_accvgpr_write_b32 a242, 0                                // 0000000065C0: D3D940F2 18000080
	v_mov_b32_e32 v234, 0                                      // 0000000065C8: 7FD40280
	v_accvgpr_write_b32 a243, 0                                // 0000000065CC: D3D940F3 18000080
	v_mov_b32_e32 v235, 0                                      // 0000000065D4: 7FD60280
	v_accvgpr_write_b32 a244, 0                                // 0000000065D8: D3D940F4 18000080
	v_mov_b32_e32 v236, 0                                      // 0000000065E0: 7FD80280
	v_accvgpr_write_b32 a245, 0                                // 0000000065E4: D3D940F5 18000080
	v_mov_b32_e32 v237, 0                                      // 0000000065EC: 7FDA0280
	v_accvgpr_write_b32 a246, 0                                // 0000000065F0: D3D940F6 18000080
	v_mov_b32_e32 v238, 0                                      // 0000000065F8: 7FDC0280
	v_accvgpr_write_b32 a247, 0                                // 0000000065FC: D3D940F7 18000080
	v_mov_b32_e32 v239, 0                                      // 000000006604: 7FDE0280
	v_accvgpr_write_b32 a248, 0                                // 000000006608: D3D940F8 18000080
	v_mov_b32_e32 v240, 0                                      // 000000006610: 7FE00280
	v_accvgpr_write_b32 a249, 0                                // 000000006614: D3D940F9 18000080
	v_mov_b32_e32 v241, 0                                      // 00000000661C: 7FE20280
	v_accvgpr_write_b32 a250, 0                                // 000000006620: D3D940FA 18000080
	v_mov_b32_e32 v242, 0                                      // 000000006628: 7FE40280
	v_accvgpr_write_b32 a251, 0                                // 00000000662C: D3D940FB 18000080
	v_mov_b32_e32 v243, 0                                      // 000000006634: 7FE60280
	v_accvgpr_write_b32 a252, 0                                // 000000006638: D3D940FC 18000080
	v_mov_b32_e32 v244, 0                                      // 000000006640: 7FE80280
	v_accvgpr_write_b32 a253, 0                                // 000000006644: D3D940FD 18000080
	v_mov_b32_e32 v245, 0                                      // 00000000664C: 7FEA0280
	v_accvgpr_write_b32 a254, 0                                // 000000006650: D3D940FE 18000080
	v_mov_b32_e32 v246, 0                                      // 000000006658: 7FEC0280
	v_accvgpr_write_b32 a255, 0                                // 00000000665C: D3D940FF 18000080
	v_mov_b32_e32 v247, 0                                      // 000000006664: 7FEE0280
	v_mov_b32_e32 v136, 0                                      // 000000006668: 7F100280
	v_mov_b32_e32 v137, 0                                      // 00000000666C: 7F120280
	v_mov_b32_e32 v138, 0                                      // 000000006670: 7F140280
	v_mov_b32_e32 v139, 0                                      // 000000006674: 7F160280
	v_mov_b32_e32 v140, 0                                      // 000000006678: 7F180280
	v_mov_b32_e32 v141, 0                                      // 00000000667C: 7F1A0280
	v_mov_b32_e32 v142, 0                                      // 000000006680: 7F1C0280
	v_mov_b32_e32 v143, 0                                      // 000000006684: 7F1E0280
	v_mov_b32_e32 v128, 0                                      // 000000006688: 7F000280
	v_mov_b32_e32 v129, 0                                      // 00000000668C: 7F020280
	v_mov_b32_e32 v130, 0                                      // 000000006690: 7F040280
	v_mov_b32_e32 v131, 0                                      // 000000006694: 7F060280
	v_mov_b32_e32 v132, 0                                      // 000000006698: 7F080280
	v_mov_b32_e32 v133, 0                                      // 00000000669C: 7F0A0280
	v_mov_b32_e32 v134, 0                                      // 0000000066A0: 7F0C0280
	v_mov_b32_e32 v135, 0                                      // 0000000066A4: 7F0E0280
	s_waitcnt lgkmcnt(0)                                       // 0000000066A8: BF8CC07F
	s_barrier                                                  // 0000000066AC: BF8A0000
	v_mov_b32_e32 v32, 0                                       // 0000000066B0: 7E400280
	s_mov_b64 exec, s[80:81]                                   // 0000000066B4: BEFE0150
	buffer_load_dword v32, v1, s[8:11], 0 idxen                // 0000000066B8: E0502000 80022001
	s_mov_b32 exec_lo, -1                                      // 0000000066C0: BEFE00C1
	s_mov_b32 exec_hi, -1                                      // 0000000066C4: BEFF00C1
	v_mov_b32_e32 v33, 0                                       // 0000000066C8: 7E420280
	s_mov_b64 exec, s[80:81]                                   // 0000000066CC: BEFE0150
	buffer_load_dword v33, v2, s[8:11], 0 idxen                // 0000000066D0: E0502000 80022102
	s_mov_b32 exec_lo, -1                                      // 0000000066D8: BEFE00C1
	s_mov_b32 exec_hi, -1                                      // 0000000066DC: BEFF00C1
	v_mov_b32_e32 v34, 0                                       // 0000000066E0: 7E440280
	s_mov_b64 exec, s[80:81]                                   // 0000000066E4: BEFE0150
	buffer_load_dword v34, v3, s[8:11], 0 idxen                // 0000000066E8: E0502000 80022203
	s_mov_b32 exec_lo, -1                                      // 0000000066F0: BEFE00C1
	s_mov_b32 exec_hi, -1                                      // 0000000066F4: BEFF00C1
	v_mov_b32_e32 v35, 0                                       // 0000000066F8: 7E460280
	s_mov_b64 exec, s[80:81]                                   // 0000000066FC: BEFE0150
	buffer_load_dword v35, v4, s[8:11], 0 idxen                // 000000006700: E0502000 80022304
	s_mov_b32 exec_lo, -1                                      // 000000006708: BEFE00C1
	s_mov_b32 exec_hi, -1                                      // 00000000670C: BEFF00C1
	v_mov_b32_e32 v40, 0                                       // 000000006710: 7E500280
	s_mov_b64 exec, s[80:81]                                   // 000000006714: BEFE0150
	buffer_load_dword v40, v248, s[20:23], 0 idxen             // 000000006718: E0502000 800528F8
	s_mov_b32 exec_lo, -1                                      // 000000006720: BEFE00C1
	s_mov_b32 exec_hi, -1                                      // 000000006724: BEFF00C1
	v_mov_b32_e32 v41, 0                                       // 000000006728: 7E520280
	s_mov_b64 exec, s[80:81]                                   // 00000000672C: BEFE0150
	buffer_load_dword v41, v249, s[20:23], 0 idxen             // 000000006730: E0502000 800529F9
	s_mov_b32 exec_lo, -1                                      // 000000006738: BEFE00C1
	s_mov_b32 exec_hi, -1                                      // 00000000673C: BEFF00C1
	v_mov_b32_e32 v42, 0                                       // 000000006740: 7E540280
	s_mov_b64 exec, s[80:81]                                   // 000000006744: BEFE0150
	buffer_load_dword v42, v250, s[20:23], 0 idxen             // 000000006748: E0502000 80052AFA
	s_mov_b32 exec_lo, -1                                      // 000000006750: BEFE00C1
	s_mov_b32 exec_hi, -1                                      // 000000006754: BEFF00C1
	v_mov_b32_e32 v43, 0                                       // 000000006758: 7E560280
	s_mov_b64 exec, s[80:81]                                   // 00000000675C: BEFE0150
	buffer_load_dword v43, v251, s[20:23], 0 idxen             // 000000006760: E0502000 80052BFB
	s_mov_b32 exec_lo, -1                                      // 000000006768: BEFE00C1
	s_mov_b32 exec_hi, -1                                      // 00000000676C: BEFF00C1
	buffer_load_dword v9, s[24:27], 0 idxen lds                // 000000006770: E0512000 80060009
	s_mov_b32 m0, s79                                          // 000000006778: BEFC004F
	v_add_u32_e32 v9, s69, v9                                  // 00000000677C: 68121245
	v_add_u32_e32 v1, s68, v1                                  // 000000006780: 68020244
	v_add_u32_e32 v2, s68, v2                                  // 000000006784: 68040444
	;; [unrolled: 1-line block ×3, first 2 shown]
	v_add_u32_e32 v4, s68, v4                                  // 00000000678C: 68080844
	v_add_u32_e32 v248, s100, v248                             // 000000006790: 69F1F064
	v_add_u32_e32 v249, s100, v249                             // 000000006794: 69F3F264
	v_add_u32_e32 v250, s100, v250                             // 000000006798: 69F5F464
	v_add_u32_e32 v251, s100, v251                             // 00000000679C: 69F7F664
	v_mul_f32_e32 v124, s48, v124                              // 0000000067A0: 0AF8F830
	v_perm_b32 v84, v37, v36, s63                              // 0000000067A4: D1ED0054 00FE4925
	v_perm_b32 v85, v37, v36, s64                              // 0000000067AC: D1ED0055 01024925
	v_perm_b32 v86, v39, v38, s63                              // 0000000067B4: D1ED0056 00FE4D27
	v_perm_b32 v87, v39, v38, s64                              // 0000000067BC: D1ED0057 01024D27
	v_perm_b32 v88, v45, v44, s63                              // 0000000067C4: D1ED0058 00FE592D
	v_perm_b32 v89, v45, v44, s64                              // 0000000067CC: D1ED0059 0102592D
	v_perm_b32 v90, v47, v46, s63                              // 0000000067D4: D1ED005A 00FE5D2F
	v_perm_b32 v91, v47, v46, s64                              // 0000000067DC: D1ED005B 01025D2F
	v_mov_b32_dpp v127, v124 quad_perm:[3,3,3,3] row_mask:0xf bank_mask:0xf// 0000000067E4: 7EFE02FA FF00FF7C
	v_mov_b32_dpp v126, v124 quad_perm:[2,2,2,2] row_mask:0xf bank_mask:0xf// 0000000067EC: 7EFC02FA FF00AA7C
	v_mov_b32_dpp v125, v124 quad_perm:[1,1,1,1] row_mask:0xf bank_mask:0xf// 0000000067F4: 7EFA02FA FF00557C
	v_mov_b32_dpp v124, v124 quad_perm:[0,0,0,0] row_mask:0xf bank_mask:0xf// 0000000067FC: 7EF802FA FF00007C
	s_waitcnt vmcnt(9)                                         // 000000006804: BF8C0F79
	s_barrier                                                  // 000000006808: BF8A0000
	s_cmp_lt_i32 s46, 2                                        // 00000000680C: BF04822E
	s_cbranch_scc0 label_1075                                  // 000000006810: BF8405E6

0000000000006814 <label_0A85>:
	s_waitcnt lgkmcnt(0)                                       // 000000006814: BF8CC07F
	s_barrier                                                  // 000000006818: BF8A0000
	v_mfma_f32_16x16x16_f16 v[48:51], a[144:145], a[0:1], 0    // 00000000681C: D3CD0030 1A020190
	ds_write_b32 v11, v44 offset:8704                          // 000000006824: D81A2200 00002C0B
	ds_write_b32 v11, v45 offset:9760                          // 00000000682C: D81A2620 00002D0B
	v_mfma_f32_16x16x16_f16 v[48:51], a[146:147], a[2:3], v[48:51]// 000000006834: D3CD0030 1CC20592
	v_mul_f32_e32 v128, s47, v128                              // 00000000683C: 0B01002F
	v_mul_f32_e32 v129, s47, v129                              // 000000006840: 0B03022F
	v_mfma_f32_16x16x16_f16 v[48:51], a[148:149], a[4:5], v[48:51]// 000000006844: D3CD0030 1CC20994
	ds_write_b32 v11, v46 offset:8832                          // 00000000684C: D81A2280 00002E0B
	ds_write_b32 v11, v47 offset:9888                          // 000000006854: D81A26A0 00002F0B
	v_mfma_f32_16x16x16_f16 v[48:51], a[150:151], a[6:7], v[48:51]// 00000000685C: D3CD0030 1CC20D96
	v_mul_f32_e32 v130, s47, v130                              // 000000006864: 0B05042F
	v_mul_f32_e32 v131, s47, v131                              // 000000006868: 0B07062F
	v_mfma_f32_16x16x16_f16 v[48:51], a[152:153], a[8:9], v[48:51]// 00000000686C: D3CD0030 1CC21198
	ds_write_b64 v20, v[128:129] offset:24320                  // 000000006874: D89A5F00 00008014
	v_mfma_f32_16x16x16_f16 v[48:51], a[154:155], a[10:11], v[48:51]// 00000000687C: D3CD0030 1CC2159A
	v_mul_f32_e32 v132, s47, v132                              // 000000006884: 0B09082F
	v_mul_f32_e32 v133, s47, v133                              // 000000006888: 0B0B0A2F
	v_mfma_f32_16x16x16_f16 v[48:51], a[156:157], a[12:13], v[48:51]// 00000000688C: D3CD0030 1CC2199C
	ds_write_b64 v20, v[130:131] offset:24832                  // 000000006894: D89A6100 00008214
	v_mfma_f32_16x16x16_f16 v[48:51], a[158:159], a[14:15], v[48:51]// 00000000689C: D3CD0030 1CC21D9E
	v_mul_f32_e32 v134, s47, v134                              // 0000000068A4: 0B0D0C2F
	v_mul_f32_e32 v135, s47, v135                              // 0000000068A8: 0B0F0E2F
	v_mfma_f32_16x16x16_f16 v[52:55], a[144:145], a[16:17], 0  // 0000000068AC: D3CD0034 1A022190
	ds_write_b64 v20, v[132:133] offset:25344                  // 0000000068B4: D89A6300 00008414
	v_mfma_f32_16x16x16_f16 v[52:55], a[146:147], a[18:19], v[52:55]// 0000000068BC: D3CD0034 1CD22592
	buffer_atomic_add_f32 v140, v7, s[32:35], 0 offen offset:256// 0000000068C4: E1341100 80088C07
	v_mfma_f32_16x16x16_f16 v[52:55], a[148:149], a[20:21], v[52:55]// 0000000068CC: D3CD0034 1CD22994
	ds_write_b64 v20, v[134:135] offset:25856                  // 0000000068D4: D89A6500 00008614
	v_mfma_f32_16x16x16_f16 v[52:55], a[150:151], a[22:23], v[52:55]// 0000000068DC: D3CD0034 1CD22D96
	v_mfma_f32_16x16x16_f16 v[52:55], a[152:153], a[24:25], v[52:55]// 0000000068E4: D3CD0034 1CD23198
	ds_read_b128 v[108:111], v12 offset:13056                  // 0000000068EC: D9FE3300 6C00000C
	ds_write_b32 v11, v36                                      // 0000000068F4: D81A0000 0000240B
	v_mfma_f32_16x16x16_f16 v[52:55], a[154:155], a[26:27], v[52:55]// 0000000068FC: D3CD0034 1CD2359A
	buffer_atomic_add_f32 v141, v8, s[32:35], 0 offen offset:256// 000000006904: E1341100 80088D08
	v_mfma_f32_16x16x16_f16 v[52:55], a[156:157], a[28:29], v[52:55]// 00000000690C: D3CD0034 1CD2399C
	v_mfma_f32_16x16x16_f16 v[52:55], a[158:159], a[30:31], v[52:55]// 000000006914: D3CD0034 1CD23D9E
	ds_read_b128 v[112:115], v12 offset:13568                  // 00000000691C: D9FE3500 7000000C
	ds_write_b32 v11, v37 offset:1056                          // 000000006924: D81A0420 0000250B
	v_mfma_f32_16x16x16_f16 v[56:59], a[144:145], a[32:33], 0  // 00000000692C: D3CD0038 1A024190
	buffer_atomic_add_f32 v142, v7, s[32:35], 0 offen offset:384// 000000006934: E1341180 80088E07
	v_mfma_f32_16x16x16_f16 v[56:59], a[146:147], a[34:35], v[56:59]// 00000000693C: D3CD0038 1CE24592
	v_mfma_f32_16x16x16_f16 v[56:59], a[148:149], a[36:37], v[56:59]// 000000006944: D3CD0038 1CE24994
	ds_read_b128 v[116:119], v12 offset:15232                  // 00000000694C: D9FE3B80 7400000C
	ds_write_b32 v11, v38 offset:128                           // 000000006954: D81A0080 0000260B
	v_mfma_f32_16x16x16_f16 v[56:59], a[150:151], a[38:39], v[56:59]// 00000000695C: D3CD0038 1CE24D96
	v_mfma_f32_16x16x16_f16 v[56:59], a[152:153], a[40:41], v[56:59]// 000000006964: D3CD0038 1CE25198
	buffer_atomic_add_f32 v143, v8, s[32:35], 0 offen offset:384// 00000000696C: E1341180 80088F08
	v_mfma_f32_16x16x16_f16 v[56:59], a[154:155], a[42:43], v[56:59]// 000000006974: D3CD0038 1CE2559A
	ds_read_b128 v[120:123], v12 offset:15744                  // 00000000697C: D9FE3D80 7800000C
	ds_write_b32 v11, v39 offset:1184                          // 000000006984: D81A04A0 0000270B
	v_mfma_f32_16x16x16_f16 v[56:59], a[156:157], a[44:45], v[56:59]// 00000000698C: D3CD0038 1CE2599C
	v_mfma_f32_16x16x16_f16 v[56:59], a[158:159], a[46:47], v[56:59]// 000000006994: D3CD0038 1CE25D9E
	s_cmp_eq_i32 s82, 0                                        // 00000000699C: BF008052
	s_cbranch_scc1 label_0B7D                                  // 0000000069A0: BF85008F
	s_cmp_lt_i32 s74, 12                                       // 0000000069A4: BF048C4A
	s_cbranch_scc0 label_0B28                                  // 0000000069A8: BF84003D
	s_lshl_b32 s60, s74, 4                                     // 0000000069AC: 8E3C844A
	v_sub_i32 v28, v252, s60                                   // 0000000069B0: D29D001C 000079FC
	s_mov_b32 s61, 0                                           // 0000000069B8: BEBD0080
	v_add_i32 v29, v28, s61                                    // 0000000069BC: D29C001D 00007B1C
	v_cmp_gt_i32_e64 s[88:89], v29, 0                          // 0000000069C4: D0C40058 0001011D
	v_cmp_gt_i32_e64 s[92:93], v29, 1                          // 0000000069CC: D0C4005C 0001031D
	v_cndmask_b32_e64 v48, v48, v151, s[88:89]                 // 0000000069D4: D1000030 01632F30
	v_cndmask_b32_e64 v49, v49, v151, s[92:93]                 // 0000000069DC: D1000031 01732F31
	v_cmp_gt_i32_e64 s[88:89], v29, 2                          // 0000000069E4: D0C40058 0001051D
	v_cmp_gt_i32_e64 s[92:93], v29, 3                          // 0000000069EC: D0C4005C 0001071D
	v_cndmask_b32_e64 v50, v50, v151, s[88:89]                 // 0000000069F4: D1000032 01632F32
	v_cndmask_b32_e64 v51, v51, v151, s[92:93]                 // 0000000069FC: D1000033 01732F33
	s_mov_b32 s61, 64                                          // 000000006A04: BEBD00C0
	v_add_i32 v29, v28, s61                                    // 000000006A08: D29C001D 00007B1C
	v_cmp_gt_i32_e64 s[88:89], v29, 0                          // 000000006A10: D0C40058 0001011D
	v_cmp_gt_i32_e64 s[92:93], v29, 1                          // 000000006A18: D0C4005C 0001031D
	v_cndmask_b32_e64 v52, v52, v151, s[88:89]                 // 000000006A20: D1000034 01632F34
	v_cndmask_b32_e64 v53, v53, v151, s[92:93]                 // 000000006A28: D1000035 01732F35
	v_cmp_gt_i32_e64 s[88:89], v29, 2                          // 000000006A30: D0C40058 0001051D
	v_cmp_gt_i32_e64 s[92:93], v29, 3                          // 000000006A38: D0C4005C 0001071D
	v_cndmask_b32_e64 v54, v54, v151, s[88:89]                 // 000000006A40: D1000036 01632F36
	v_cndmask_b32_e64 v55, v55, v151, s[92:93]                 // 000000006A48: D1000037 01732F37
	s_mov_b32 s61, 0x80                                        // 000000006A50: BEBD00FF 00000080
	v_add_i32 v29, v28, s61                                    // 000000006A58: D29C001D 00007B1C
	v_cmp_gt_i32_e64 s[88:89], v29, 0                          // 000000006A60: D0C40058 0001011D
	v_cmp_gt_i32_e64 s[92:93], v29, 1                          // 000000006A68: D0C4005C 0001031D
	v_cndmask_b32_e64 v56, v56, v151, s[88:89]                 // 000000006A70: D1000038 01632F38
	v_cndmask_b32_e64 v57, v57, v151, s[92:93]                 // 000000006A78: D1000039 01732F39
	v_cmp_gt_i32_e64 s[88:89], v29, 2                          // 000000006A80: D0C40058 0001051D
	v_cmp_gt_i32_e64 s[92:93], v29, 3                          // 000000006A88: D0C4005C 0001071D
	v_cndmask_b32_e64 v58, v58, v151, s[88:89]                 // 000000006A90: D100003A 01632F3A
	v_cndmask_b32_e64 v59, v59, v151, s[92:93]                 // 000000006A98: D100003B 01732F3B

0000000000006aa0 <label_0B28>:
	s_cmp_lt_i32 s84, 0xc0                                     // 000000006AA0: BF04FF54 000000C0
	s_cbranch_scc0 label_0B7D                                  // 000000006AA8: BF84004D
	s_cmp_le_i32 s84, 64                                       // 000000006AAC: BF05C054
	s_cbranch_scc1 label_0B34                                  // 000000006AB0: BF850007
	s_cmp_le_i32 s84, 0x80                                     // 000000006AB4: BF05FF54 00000080
	s_cbranch_scc1 label_0B4C                                  // 000000006ABC: BF850017
	s_cmp_lt_i32 s84, 0xc0                                     // 000000006AC0: BF04FF54 000000C0
	s_cbranch_scc1 label_0B64                                  // 000000006AC8: BF85002C
	s_branch label_0B7D                                        // 000000006ACC: BF820044

0000000000006ad0 <label_0B34>:
	s_mov_b32 s60, 0                                           // 000000006AD0: BEBC0080
	v_and_b32_e32 v28, 15, v0                                  // 000000006AD4: 2638008F
	v_add_u32_e64 v28, v28, s60                                // 000000006AD8: D134001C 0000791C
	v_mul_i32_i24_e64 v29, s46, 16                             // 000000006AE0: D106001D 0001202E
	v_add_u32_e32 v28, v28, v29                                // 000000006AE8: 68383B1C
	v_cmp_lt_u32_e64 s[60:61], v28, s84                        // 000000006AEC: D0C9003C 0000A91C
	s_nop 1                                                    // 000000006AF4: BF800001
	v_cndmask_b32_e64 v48, v151, v48, s[60:61]                 // 000000006AF8: D1000030 00F26197
	v_cndmask_b32_e64 v49, v151, v49, s[60:61]                 // 000000006B00: D1000031 00F26397
	v_cndmask_b32_e64 v50, v151, v50, s[60:61]                 // 000000006B08: D1000032 00F26597
	v_cndmask_b32_e64 v51, v151, v51, s[60:61]                 // 000000006B10: D1000033 00F26797
	s_branch label_0B5F                                        // 000000006B18: BF820013

0000000000006b1c <label_0B4C>:
	s_mov_b32 s60, 64                                          // 000000006B1C: BEBC00C0
	v_and_b32_e32 v28, 15, v0                                  // 000000006B20: 2638008F
	v_add_u32_e64 v28, v28, s60                                // 000000006B24: D134001C 0000791C
	v_mul_i32_i24_e64 v29, s46, 16                             // 000000006B2C: D106001D 0001202E
	v_add_u32_e32 v28, v28, v29                                // 000000006B34: 68383B1C
	v_cmp_lt_u32_e64 s[60:61], v28, s84                        // 000000006B38: D0C9003C 0000A91C
	s_nop 1                                                    // 000000006B40: BF800001
	v_cndmask_b32_e64 v52, v151, v52, s[60:61]                 // 000000006B44: D1000034 00F26997
	v_cndmask_b32_e64 v53, v151, v53, s[60:61]                 // 000000006B4C: D1000035 00F26B97
	v_cndmask_b32_e64 v54, v151, v54, s[60:61]                 // 000000006B54: D1000036 00F26D97
	v_cndmask_b32_e64 v55, v151, v55, s[60:61]                 // 000000006B5C: D1000037 00F26F97
	s_branch label_0B78                                        // 000000006B64: BF820019

0000000000006b68 <label_0B5F>:
	v_mov_b32_e32 v52, v151                                    // 000000006B68: 7E680397
	v_mov_b32_e32 v53, v151                                    // 000000006B6C: 7E6A0397
	v_mov_b32_e32 v54, v151                                    // 000000006B70: 7E6C0397
	v_mov_b32_e32 v55, v151                                    // 000000006B74: 7E6E0397
	s_branch label_0B78                                        // 000000006B78: BF820014

0000000000006b7c <label_0B64>:
	s_mov_b32 s60, 0x80                                        // 000000006B7C: BEBC00FF 00000080
	v_and_b32_e32 v28, 15, v0                                  // 000000006B84: 2638008F
	v_add_u32_e64 v28, v28, s60                                // 000000006B88: D134001C 0000791C
	v_mul_i32_i24_e64 v29, s46, 16                             // 000000006B90: D106001D 0001202E
	v_add_u32_e32 v28, v28, v29                                // 000000006B98: 68383B1C
	v_cmp_lt_u32_e64 s[60:61], v28, s84                        // 000000006B9C: D0C9003C 0000A91C
	s_nop 1                                                    // 000000006BA4: BF800001
	v_cndmask_b32_e64 v56, v151, v56, s[60:61]                 // 000000006BA8: D1000038 00F27197
	v_cndmask_b32_e64 v57, v151, v57, s[60:61]                 // 000000006BB0: D1000039 00F27397
	v_cndmask_b32_e64 v58, v151, v58, s[60:61]                 // 000000006BB8: D100003A 00F27597
	v_cndmask_b32_e64 v59, v151, v59, s[60:61]                 // 000000006BC0: D100003B 00F27797
	s_branch label_0B7D                                        // 000000006BC8: BF820005

0000000000006bcc <label_0B78>:
	v_mov_b32_e32 v56, v151                                    // 000000006BCC: 7E700397
	v_mov_b32_e32 v57, v151                                    // 000000006BD0: 7E720397
	v_mov_b32_e32 v58, v151                                    // 000000006BD4: 7E740397
	v_mov_b32_e32 v59, v151                                    // 000000006BD8: 7E760397
	s_branch label_0B7D                                        // 000000006BDC: BF820000

0000000000006be0 <label_0B7D>:
	s_addk_i32 s74, 0x1                                        // 000000006BE0: B74A0001
	s_waitcnt lgkmcnt(8)                                       // 000000006BE4: BF8CC87F
	s_barrier                                                  // 000000006BE8: BF8A0000
	v_mfma_f32_16x16x16_f16 v[72:75], v[92:93], a[96:97], 0    // 000000006BEC: D3CD0048 1202C15C
	ds_read_b128 a[144:147], v12 offset:4352                   // 000000006BF4: DBFE1100 9000000C
	ds_read_b128 a[148:151], v12 offset:4864                   // 000000006BFC: DBFE1300 9400000C
	v_mfma_f32_16x16x16_f16 v[72:75], v[94:95], a[98:99], v[72:75]// 000000006C04: D3CD0048 1522C55E
	v_fma_f32 v48, v48, s57, -v124                             // 000000006C0C: D1CB0030 85F07330
	v_fma_f32 v49, v49, s57, -v125                             // 000000006C14: D1CB0031 85F47331
	v_fma_f32 v50, v50, s57, -v126                             // 000000006C1C: D1CB0032 85F87332
	v_mfma_f32_16x16x16_f16 v[72:75], v[96:97], a[100:101], v[72:75]// 000000006C24: D3CD0048 1522C960
	v_fma_f32 v51, v51, s57, -v127                             // 000000006C2C: D1CB0033 85FC7333
	v_fma_f32 v52, v52, s57, -v124                             // 000000006C34: D1CB0034 85F07334
	v_fma_f32 v53, v53, s57, -v125                             // 000000006C3C: D1CB0035 85F47335
	v_mfma_f32_16x16x16_f16 v[72:75], v[98:99], a[102:103], v[72:75]// 000000006C44: D3CD0048 1522CD62
	v_fma_f32 v54, v54, s57, -v126                             // 000000006C4C: D1CB0036 85F87336
	v_fma_f32 v55, v55, s57, -v127                             // 000000006C54: D1CB0037 85FC7337
	v_fma_f32 v56, v56, s57, -v124                             // 000000006C5C: D1CB0038 85F07338
	v_mfma_f32_16x16x16_f16 v[72:75], v[100:101], a[104:105], v[72:75]// 000000006C64: D3CD0048 1522D164
	ds_read_b128 a[152:155], v12 offset:6528                   // 000000006C6C: DBFE1980 9800000C
	ds_read_b128 a[156:159], v12 offset:7040                   // 000000006C74: DBFE1B80 9C00000C
	v_mfma_f32_16x16x16_f16 v[72:75], v[102:103], a[106:107], v[72:75]// 000000006C7C: D3CD0048 1522D566
	v_fma_f32 v57, v57, s57, -v125                             // 000000006C84: D1CB0039 85F47339
	v_fma_f32 v58, v58, s57, -v126                             // 000000006C8C: D1CB003A 85F8733A
	v_fma_f32 v59, v59, s57, -v127                             // 000000006C94: D1CB003B 85FC733B
	v_mfma_f32_16x16x16_f16 v[72:75], v[104:105], a[108:109], v[72:75]// 000000006C9C: D3CD0048 1522D968
	v_exp_f32_e32 v48, v48                                     // 000000006CA4: 7E604130
	v_mfma_f32_16x16x16_f16 v[72:75], v[106:107], a[110:111], v[72:75]// 000000006CA8: D3CD0048 1522DD6A
	v_exp_f32_e32 v49, v49                                     // 000000006CB0: 7E624131
	v_mfma_f32_16x16x16_f16 v[76:79], v[92:93], a[112:113], 0  // 000000006CB4: D3CD004C 1202E15C
	ds_read_b64 v[136:137], v19 offset:24320                   // 000000006CBC: D8EC5F00 88000013
	ds_read_b64 v[138:139], v19 offset:26368                   // 000000006CC4: D8EC6700 8A000013
	v_mfma_f32_16x16x16_f16 v[76:79], v[94:95], a[114:115], v[76:79]// 000000006CCC: D3CD004C 1532E55E
	v_exp_f32_e32 v50, v50                                     // 000000006CD4: 7E644132
	v_mfma_f32_16x16x16_f16 v[76:79], v[96:97], a[116:117], v[76:79]// 000000006CD8: D3CD004C 1532E960
	ds_read_b64 v[140:141], v19 offset:28416                   // 000000006CE0: D8EC6F00 8C000013
	ds_read_b64 v[142:143], v19 offset:30464                   // 000000006CE8: D8EC7700 8E000013
	v_mfma_f32_16x16x16_f16 v[76:79], v[98:99], a[118:119], v[76:79]// 000000006CF0: D3CD004C 1532ED62
	v_exp_f32_e32 v51, v51                                     // 000000006CF8: 7E664133
	v_mfma_f32_16x16x16_f16 v[76:79], v[100:101], a[120:121], v[76:79]// 000000006CFC: D3CD004C 1532F164
	v_exp_f32_e32 v52, v52                                     // 000000006D04: 7E684134
	v_mfma_f32_16x16x16_f16 v[76:79], v[102:103], a[122:123], v[76:79]// 000000006D08: D3CD004C 1532F566
	v_exp_f32_e32 v53, v53                                     // 000000006D10: 7E6A4135
	v_mfma_f32_16x16x16_f16 v[76:79], v[104:105], a[124:125], v[76:79]// 000000006D14: D3CD004C 1532F968
	v_exp_f32_e32 v54, v54                                     // 000000006D1C: 7E6C4136
	v_mfma_f32_16x16x16_f16 v[76:79], v[106:107], a[126:127], v[76:79]// 000000006D20: D3CD004C 1532FD6A
	v_exp_f32_e32 v55, v55                                     // 000000006D28: 7E6E4137
	v_mfma_f32_16x16x16_f16 v[80:83], v[92:93], a[128:129], 0  // 000000006D2C: D3CD0050 1203015C
	v_exp_f32_e32 v56, v56                                     // 000000006D34: 7E704138
	v_mfma_f32_16x16x16_f16 v[80:83], v[94:95], a[130:131], v[80:83]// 000000006D38: D3CD0050 1543055E
	v_exp_f32_e32 v57, v57                                     // 000000006D40: 7E724139
	v_mfma_f32_16x16x16_f16 v[80:83], v[96:97], a[132:133], v[80:83]// 000000006D44: D3CD0050 15430960
	v_exp_f32_e32 v58, v58                                     // 000000006D4C: 7E74413A
	v_mfma_f32_16x16x16_f16 v[80:83], v[98:99], a[134:135], v[80:83]// 000000006D50: D3CD0050 15430D62
	v_exp_f32_e32 v59, v59                                     // 000000006D58: 7E76413B
	v_mfma_f32_16x16x16_f16 v[80:83], v[100:101], a[136:137], v[80:83]// 000000006D5C: D3CD0050 15431164
	v_cvt_pkrtz_f16_f32 v144, v48, v49                         // 000000006D64: D2960090 00026330
	v_cvt_pkrtz_f16_f32 v145, v50, v51                         // 000000006D6C: D2960091 00026732
	v_cvt_pkrtz_f16_f32 v146, v52, v53                         // 000000006D74: D2960092 00026B34
	v_mfma_f32_16x16x16_f16 v[80:83], v[102:103], a[138:139], v[80:83]// 000000006D7C: D3CD0050 15431566
	v_cvt_pkrtz_f16_f32 v147, v54, v55                         // 000000006D84: D2960093 00026F36
	v_cvt_pkrtz_f16_f32 v148, v56, v57                         // 000000006D8C: D2960094 00027338
	v_cvt_pkrtz_f16_f32 v149, v58, v59                         // 000000006D94: D2960095 0002773A
	v_mfma_f32_16x16x16_f16 v[80:83], v[104:105], a[140:141], v[80:83]// 000000006D9C: D3CD0050 15431968
	v_add_u32_e32 v7, s66, v7                                  // 000000006DA4: 680E0E42
	v_add_u32_e32 v8, s66, v8                                  // 000000006DA8: 68101042
	v_mfma_f32_16x16x16_f16 v[80:83], v[106:107], a[142:143], v[80:83]// 000000006DAC: D3CD0050 15431D6A
	s_waitcnt lgkmcnt(0)                                       // 000000006DB4: BF8CC07F
	s_barrier                                                  // 000000006DB8: BF8A0000
	v_mfma_f32_16x16x16_f16 v[152:155], v[108:109], v[144:145], v[152:155]// 000000006DBC: D3CD0098 0663216C
	v_subrev_f32_dpp v72, v150, v72 quad_perm:[0,0,0,0] row_mask:0xf bank_mask:0xf// 000000006DC4: 069090FA FF000096
	v_subrev_f32_dpp v73, v150, v73 quad_perm:[1,1,1,1] row_mask:0xf bank_mask:0xf// 000000006DCC: 069292FA FF005596
	v_subrev_f32_dpp v74, v150, v74 quad_perm:[2,2,2,2] row_mask:0xf bank_mask:0xf// 000000006DD4: 069494FA FF00AA96
	v_mfma_f32_16x16x16_f16 v[156:159], v[110:111], v[144:145], v[156:159]// 000000006DDC: D3CD009C 0673216E
	v_subrev_f32_dpp v75, v150, v75 quad_perm:[3,3,3,3] row_mask:0xf bank_mask:0xf// 000000006DE4: 069696FA FF00FF96
	v_subrev_f32_dpp v76, v150, v76 quad_perm:[0,0,0,0] row_mask:0xf bank_mask:0xf// 000000006DEC: 069898FA FF000096
	v_subrev_f32_dpp v77, v150, v77 quad_perm:[1,1,1,1] row_mask:0xf bank_mask:0xf// 000000006DF4: 069A9AFA FF005596
	v_mfma_f32_16x16x16_f16 v[160:163], v[112:113], v[144:145], v[160:163]// 000000006DFC: D3CD00A0 06832170
	v_mul_f32_e32 v72, v48, v72                                // 000000006E04: 0A909130
	v_mul_f32_e32 v73, v49, v73                                // 000000006E08: 0A929331
	v_mul_f32_e32 v74, v50, v74                                // 000000006E0C: 0A949532
	v_mfma_f32_16x16x16_f16 v[164:167], v[114:115], v[144:145], v[164:167]// 000000006E10: D3CD00A4 06932172
	v_mul_f32_e32 v75, v51, v75                                // 000000006E18: 0A969733
	v_mul_f32_e32 v76, v52, v76                                // 000000006E1C: 0A989934
	v_mul_f32_e32 v77, v53, v77                                // 000000006E20: 0A9A9B35
	v_mfma_f32_16x16x16_f16 v[168:171], v[116:117], v[144:145], v[168:171]// 000000006E24: D3CD00A8 06A32174
	v_cvt_pkrtz_f16_f32 v72, v72, v73                          // 000000006E2C: D2960048 00029348
	v_cvt_pkrtz_f16_f32 v73, v74, v75                          // 000000006E34: D2960049 0002974A
	v_cvt_pkrtz_f16_f32 v74, v76, v77                          // 000000006E3C: D296004A 00029B4C
	v_mfma_f32_16x16x16_f16 v[172:175], v[118:119], v[144:145], v[172:175]// 000000006E44: D3CD00AC 06B32176
	v_mov_b32_dpp v16, v72 quad_perm:[1,0,3,2] row_mask:0xf bank_mask:0xf// 000000006E4C: 7E2002FA FF00B148
	v_perm_b32 v48, v16, v72, v15                              // 000000006E54: D1ED0030 043E9110
	v_mov_b32_dpp v16, v73 quad_perm:[1,0,3,2] row_mask:0xf bank_mask:0xf// 000000006E5C: 7E2002FA FF00B149
	v_mfma_f32_16x16x16_f16 v[176:179], v[120:121], v[144:145], v[176:179]// 000000006E64: D3CD00B0 06C32178
	v_perm_b32 v49, v16, v73, v15                              // 000000006E6C: D1ED0031 043E9310
	v_mov_b32_dpp v16, v74 quad_perm:[1,0,3,2] row_mask:0xf bank_mask:0xf// 000000006E74: 7E2002FA FF00B14A
	v_perm_b32 v50, v16, v74, v15                              // 000000006E7C: D1ED0032 043E9510
	v_mfma_f32_16x16x16_f16 v[180:183], v[122:123], v[144:145], v[180:183]// 000000006E84: D3CD00B4 06D3217A
	ds_write_b32 v18, v48 offset:17408                         // 000000006E8C: D81A4400 00003012
	v_mfma_f32_16x16x16_f16 v[184:187], v[108:109], v[146:147], v[184:187]// 000000006E94: D3CD00B8 06E3256C
	v_subrev_f32_dpp v78, v150, v78 quad_perm:[2,2,2,2] row_mask:0xf bank_mask:0xf// 000000006E9C: 069C9CFA FF00AA96
	v_subrev_f32_dpp v79, v150, v79 quad_perm:[3,3,3,3] row_mask:0xf bank_mask:0xf// 000000006EA4: 069E9EFA FF00FF96
	v_subrev_f32_dpp v80, v150, v80 quad_perm:[0,0,0,0] row_mask:0xf bank_mask:0xf// 000000006EAC: 06A0A0FA FF000096
	v_mfma_f32_16x16x16_f16 v[188:191], v[110:111], v[146:147], v[188:191]// 000000006EB4: D3CD00BC 06F3256E
	ds_write_b32 v18, v49 offset:17952                         // 000000006EBC: D81A4620 00003112
	v_mfma_f32_16x16x16_f16 v[192:195], v[112:113], v[146:147], v[192:195]// 000000006EC4: D3CD00C0 07032570
	v_subrev_f32_dpp v81, v150, v81 quad_perm:[1,1,1,1] row_mask:0xf bank_mask:0xf// 000000006ECC: 06A2A2FA FF005596
	v_subrev_f32_dpp v82, v150, v82 quad_perm:[2,2,2,2] row_mask:0xf bank_mask:0xf// 000000006ED4: 06A4A4FA FF00AA96
	v_subrev_f32_dpp v83, v150, v83 quad_perm:[3,3,3,3] row_mask:0xf bank_mask:0xf// 000000006EDC: 06A6A6FA FF00FF96
	v_mfma_f32_16x16x16_f16 v[196:199], v[114:115], v[146:147], v[196:199]// 000000006EE4: D3CD00C4 07132572
	ds_write_b32 v18, v50 offset:19712                         // 000000006EEC: D81A4D00 00003212
	v_mfma_f32_16x16x16_f16 v[200:203], v[116:117], v[146:147], v[200:203]// 000000006EF4: D3CD00C8 07232574
	v_mul_f32_e32 v78, v54, v78                                // 000000006EFC: 0A9C9D36
	v_mul_f32_e32 v79, v55, v79                                // 000000006F00: 0A9E9F37
	v_mul_f32_e32 v80, v56, v80                                // 000000006F04: 0AA0A138
	v_mfma_f32_16x16x16_f16 v[204:207], v[118:119], v[146:147], v[204:207]// 000000006F08: D3CD00CC 07332576
	v_mul_f32_e32 v81, v57, v81                                // 000000006F10: 0AA2A339
	v_mul_f32_e32 v82, v58, v82                                // 000000006F14: 0AA4A53A
	v_mul_f32_e32 v83, v59, v83                                // 000000006F18: 0AA6A73B
	v_mfma_f32_16x16x16_f16 v[208:211], v[120:121], v[146:147], v[208:211]// 000000006F1C: D3CD00D0 07432578
	v_cvt_pkrtz_f16_f32 v75, v78, v79                          // 000000006F24: D296004B 00029F4E
	v_cvt_pkrtz_f16_f32 v76, v80, v81                          // 000000006F2C: D296004C 0002A350
	v_cvt_pkrtz_f16_f32 v77, v82, v83                          // 000000006F34: D296004D 0002A752
	v_mfma_f32_16x16x16_f16 v[212:215], v[122:123], v[146:147], v[212:215]// 000000006F3C: D3CD00D4 0753257A
	v_mov_b32_dpp v16, v75 quad_perm:[1,0,3,2] row_mask:0xf bank_mask:0xf// 000000006F44: 7E2002FA FF00B14B
	v_perm_b32 v51, v16, v75, v15                              // 000000006F4C: D1ED0033 043E9710
	v_mov_b32_dpp v16, v76 quad_perm:[1,0,3,2] row_mask:0xf bank_mask:0xf// 000000006F54: 7E2002FA FF00B14C
	v_mfma_f32_16x16x16_f16 v[216:219], v[108:109], v[148:149], v[216:219]// 000000006F5C: D3CD00D8 0763296C
	v_perm_b32 v52, v16, v76, v15                              // 000000006F64: D1ED0034 043E9910
	v_mov_b32_dpp v16, v77 quad_perm:[1,0,3,2] row_mask:0xf bank_mask:0xf// 000000006F6C: 7E2002FA FF00B14D
	v_perm_b32 v53, v16, v77, v15                              // 000000006F74: D1ED0035 043E9B10
	v_mfma_f32_16x16x16_f16 v[220:223], v[110:111], v[148:149], v[220:223]// 000000006F7C: D3CD00DC 0773296E
	ds_write_b32 v18, v51 offset:20256                         // 000000006F84: D81A4F20 00003312
	v_mfma_f32_16x16x16_f16 v[224:227], v[112:113], v[148:149], v[224:227]// 000000006F8C: D3CD00E0 07832970
	v_mfma_f32_16x16x16_f16 v[228:231], v[114:115], v[148:149], v[228:231]// 000000006F94: D3CD00E4 07932972
	ds_write_b32 v18, v52 offset:22016                         // 000000006F9C: D81A5600 00003412
	ds_write_b32 v18, v53 offset:22560                         // 000000006FA4: D81A5820 00003512
	v_mfma_f32_16x16x16_f16 v[232:235], v[116:117], v[148:149], v[232:235]// 000000006FAC: D3CD00E8 07A32974
	v_mfma_f32_16x16x16_f16 v[236:239], v[118:119], v[148:149], v[236:239]// 000000006FB4: D3CD00EC 07B32976
	ds_write_b32 v13, v84 offset:4352                          // 000000006FBC: D81A1100 0000540D
	ds_write_b32 v13, v85 offset:5408                          // 000000006FC4: D81A1520 0000550D
	v_mfma_f32_16x16x16_f16 v[240:243], v[120:121], v[148:149], v[240:243]// 000000006FCC: D3CD00F0 07C32978
	s_nop 0                                                    // 000000006FD4: BF800000
	s_nop 0                                                    // 000000006FD8: BF800000
	s_nop 0                                                    // 000000006FDC: BF800000
	v_mfma_f32_16x16x16_f16 v[244:247], v[122:123], v[148:149], v[244:247]// 000000006FE0: D3CD00F4 07D3297A
	ds_write_b32 v13, v86 offset:4480                          // 000000006FE8: D81A1180 0000560D
	ds_write_b32 v13, v87 offset:5536                          // 000000006FF0: D81A15A0 0000570D
	s_barrier                                                  // 000000006FF8: BF8A0000
	v_mfma_f32_16x16x16_f16 a[160:163], a[144:145], v[72:73], a[160:163]// 000000006FFC: D3CD80A0 0E829190
	buffer_atomic_add_f32 v136, v7, s[32:35], 0 offen          // 000000007004: E1341000 80088807
	v_mfma_f32_16x16x16_f16 a[164:167], a[146:147], v[72:73], a[164:167]// 00000000700C: D3CD80A4 0E929192
	ds_read_b32 v124, v21 offset:51200                         // 000000007014: D86CC800 7C000015
	ds_read_b32 v150, v21 offset:51456                         // 00000000701C: D86CC900 96000015
	v_mfma_f32_16x16x16_f16 a[168:171], a[148:149], v[72:73], a[168:171]// 000000007024: D3CD80A8 0EA29194
	s_waitcnt lgkmcnt(6)                                       // 00000000702C: BF8CC67F
	s_barrier                                                  // 000000007030: BF8A0000
	v_mfma_f32_16x16x16_f16 a[172:175], a[150:151], v[72:73], a[172:175]// 000000007034: D3CD80AC 0EB29196
	ds_read_b128 v[48:51], v17 offset:17408                    // 00000000703C: D9FE4400 30000011
	v_mfma_f32_16x16x16_f16 a[176:179], a[152:153], v[72:73], a[176:179]// 000000007044: D3CD80B0 0EC29198
	v_mfma_f32_16x16x16_f16 a[180:183], a[154:155], v[72:73], a[180:183]// 00000000704C: D3CD80B4 0ED2919A
	ds_read_b128 v[52:55], v17 offset:18560                    // 000000007054: D9FE4880 34000011
	v_mfma_f32_16x16x16_f16 a[184:187], a[156:157], v[72:73], a[184:187]// 00000000705C: D3CD80B8 0EE2919C
	buffer_atomic_add_f32 v137, v8, s[32:35], 0 offen          // 000000007064: E1341000 80088908
	v_mfma_f32_16x16x16_f16 a[188:191], a[158:159], v[72:73], a[188:191]// 00000000706C: D3CD80BC 0EF2919E
	ds_read_b128 v[56:59], v17 offset:19712                    // 000000007074: D9FE4D00 38000011
	v_mfma_f32_16x16x16_f16 a[192:195], a[144:145], v[74:75], a[192:195]// 00000000707C: D3CD80C0 0F029590
	v_mfma_f32_16x16x16_f16 a[196:199], a[146:147], v[74:75], a[196:199]// 000000007084: D3CD80C4 0F129592
	ds_read_b128 v[60:63], v17 offset:20864                    // 00000000708C: D9FE5180 3C000011
	v_mfma_f32_16x16x16_f16 a[200:203], a[148:149], v[74:75], a[200:203]// 000000007094: D3CD80C8 0F229594
	v_mfma_f32_16x16x16_f16 a[204:207], a[150:151], v[74:75], a[204:207]// 00000000709C: D3CD80CC 0F329596
	ds_read_b128 v[64:67], v17 offset:22016                    // 0000000070A4: D9FE5600 40000011
	v_mfma_f32_16x16x16_f16 a[208:211], a[152:153], v[74:75], a[208:211]// 0000000070AC: D3CD80D0 0F429598
	buffer_atomic_add_f32 v138, v7, s[32:35], 0 offen offset:128// 0000000070B4: E1341080 80088A07
	v_mfma_f32_16x16x16_f16 a[212:215], a[154:155], v[74:75], a[212:215]// 0000000070BC: D3CD80D4 0F52959A
	ds_read_b128 v[68:71], v17 offset:23168                    // 0000000070C4: D9FE5A80 44000011
	v_mfma_f32_16x16x16_f16 a[216:219], a[156:157], v[74:75], a[216:219]// 0000000070CC: D3CD80D8 0F62959C
	v_mfma_f32_16x16x16_f16 a[220:223], a[158:159], v[74:75], a[220:223]// 0000000070D4: D3CD80DC 0F72959E
	ds_write_b32 v13, v88 offset:13056                         // 0000000070DC: D81A3300 0000580D
	v_mfma_f32_16x16x16_f16 a[224:227], a[144:145], v[76:77], a[224:227]// 0000000070E4: D3CD80E0 0F829990
	v_mfma_f32_16x16x16_f16 a[228:231], a[146:147], v[76:77], a[228:231]// 0000000070EC: D3CD80E4 0F929992
	ds_write_b32 v13, v89 offset:14112                         // 0000000070F4: D81A3720 0000590D
	v_mfma_f32_16x16x16_f16 a[232:235], a[148:149], v[76:77], a[232:235]// 0000000070FC: D3CD80E8 0FA29994
	buffer_atomic_add_f32 v139, v8, s[32:35], 0 offen offset:128// 000000007104: E1341080 80088B08
	v_mfma_f32_16x16x16_f16 a[236:239], a[150:151], v[76:77], a[236:239]// 00000000710C: D3CD80EC 0FB29996
	ds_write_b32 v13, v90 offset:13184                         // 000000007114: D81A3380 00005A0D
	v_mfma_f32_16x16x16_f16 a[240:243], a[152:153], v[76:77], a[240:243]// 00000000711C: D3CD80F0 0FC29998
	v_mfma_f32_16x16x16_f16 a[244:247], a[154:155], v[76:77], a[244:247]// 000000007124: D3CD80F4 0FD2999A
	ds_write_b32 v13, v91 offset:14240                         // 00000000712C: D81A37A0 00005B0D
	v_mfma_f32_16x16x16_f16 a[248:251], a[156:157], v[76:77], a[248:251]// 000000007134: D3CD80F8 0FE2999C
	v_mfma_f32_16x16x16_f16 a[252:255], a[158:159], v[76:77], a[252:255]// 00000000713C: D3CD80FC 0FF2999E
	s_waitcnt vmcnt(8) lgkmcnt(4)                              // 000000007144: BF8C0478
	s_barrier                                                  // 000000007148: BF8A0000
	v_mfma_f32_16x16x16_f16 v[128:131], v[48:49], a[48:49], 0  // 00000000714C: D3CD0080 12026130
	v_mul_f32_e32 v124, s48, v124                              // 000000007154: 0AF8F830
	s_nop 0                                                    // 000000007158: BF800000
	v_mfma_f32_16x16x16_f16 v[128:131], v[50:51], a[52:53], v[128:131]// 00000000715C: D3CD0080 16026932
	ds_read_b128 a[144:147], v10                               // 000000007164: DBFE0000 9000000A
	v_mov_b32_e32 v36, 0                                       // 00000000716C: 7E480280
	s_mov_b64 exec, s[80:81]                                   // 000000007170: BEFE0150
	buffer_load_dword v36, v1, s[8:11], 0 idxen                // 000000007174: E0502000 80022401
	s_mov_b32 exec_lo, -1                                      // 00000000717C: BEFE00C1
	s_mov_b32 exec_hi, -1                                      // 000000007180: BEFF00C1
	v_mfma_f32_16x16x16_f16 v[128:131], v[52:53], a[56:57], v[128:131]// 000000007184: D3CD0080 16027134
	v_mfma_f32_16x16x16_f16 v[128:131], v[54:55], a[60:61], v[128:131]// 00000000718C: D3CD0080 16027936
	ds_read_b128 a[148:151], v10 offset:512                    // 000000007194: DBFE0200 9400000A
	v_mov_b32_e32 v37, 0                                       // 00000000719C: 7E4A0280
	s_mov_b64 exec, s[80:81]                                   // 0000000071A0: BEFE0150
	buffer_load_dword v37, v2, s[8:11], 0 idxen                // 0000000071A4: E0502000 80022502
	s_mov_b32 exec_lo, -1                                      // 0000000071AC: BEFE00C1
	s_mov_b32 exec_hi, -1                                      // 0000000071B0: BEFF00C1
	v_mfma_f32_16x16x16_f16 v[128:131], v[56:57], a[64:65], v[128:131]// 0000000071B4: D3CD0080 16028138
	v_perm_b32 v84, v33, v32, s63                              // 0000000071BC: D1ED0054 00FE4121
	v_perm_b32 v85, v33, v32, s64                              // 0000000071C4: D1ED0055 01024121
	v_mfma_f32_16x16x16_f16 v[128:131], v[58:59], a[68:69], v[128:131]// 0000000071CC: D3CD0080 1602893A
	ds_read_b128 a[152:155], v10 offset:2176                   // 0000000071D4: DBFE0880 9800000A
	v_mov_b32_e32 v38, 0                                       // 0000000071DC: 7E4C0280
	s_mov_b64 exec, s[80:81]                                   // 0000000071E0: BEFE0150
	buffer_load_dword v38, v3, s[8:11], 0 idxen                // 0000000071E4: E0502000 80022603
	s_mov_b32 exec_lo, -1                                      // 0000000071EC: BEFE00C1
	s_mov_b32 exec_hi, -1                                      // 0000000071F0: BEFF00C1
	v_mfma_f32_16x16x16_f16 v[128:131], v[60:61], a[72:73], v[128:131]// 0000000071F4: D3CD0080 1602913C
	v_perm_b32 v86, v35, v34, s63                              // 0000000071FC: D1ED0056 00FE4523
	v_perm_b32 v87, v35, v34, s64                              // 000000007204: D1ED0057 01024523
	v_mfma_f32_16x16x16_f16 v[128:131], v[62:63], a[76:77], v[128:131]// 00000000720C: D3CD0080 1602993E
	ds_read_b128 a[156:159], v10 offset:2688                   // 000000007214: DBFE0A80 9C00000A
	v_mov_b32_e32 v39, 0                                       // 00000000721C: 7E4E0280
	s_mov_b64 exec, s[80:81]                                   // 000000007220: BEFE0150
	buffer_load_dword v39, v4, s[8:11], 0 idxen                // 000000007224: E0502000 80022704
	s_mov_b32 exec_lo, -1                                      // 00000000722C: BEFE00C1
	s_mov_b32 exec_hi, -1                                      // 000000007230: BEFF00C1
	v_mfma_f32_16x16x16_f16 v[128:131], v[64:65], a[80:81], v[128:131]// 000000007234: D3CD0080 1602A140
	v_perm_b32 v88, v41, v40, s63                              // 00000000723C: D1ED0058 00FE5129
	v_perm_b32 v89, v41, v40, s64                              // 000000007244: D1ED0059 01025129
	v_mfma_f32_16x16x16_f16 v[128:131], v[66:67], a[84:85], v[128:131]// 00000000724C: D3CD0080 1602A942
	ds_read_b128 v[92:95], v10 offset:8704                     // 000000007254: D9FE2200 5C00000A
	v_mov_b32_e32 v44, 0                                       // 00000000725C: 7E580280
	s_mov_b64 exec, s[80:81]                                   // 000000007260: BEFE0150
	buffer_load_dword v44, v248, s[20:23], 0 idxen             // 000000007264: E0502000 80052CF8
	s_mov_b32 exec_lo, -1                                      // 00000000726C: BEFE00C1
	s_mov_b32 exec_hi, -1                                      // 000000007270: BEFF00C1
	v_mfma_f32_16x16x16_f16 v[128:131], v[68:69], a[88:89], v[128:131]// 000000007274: D3CD0080 1602B144
	v_perm_b32 v90, v43, v42, s63                              // 00000000727C: D1ED005A 00FE552B
	v_perm_b32 v91, v43, v42, s64                              // 000000007284: D1ED005B 0102552B
	v_mfma_f32_16x16x16_f16 v[128:131], v[70:71], a[92:93], v[128:131]// 00000000728C: D3CD0080 1602B946
	ds_read_b128 v[96:99], v10 offset:9216                     // 000000007294: D9FE2400 6000000A
	v_mov_b32_e32 v45, 0                                       // 00000000729C: 7E5A0280
	s_mov_b64 exec, s[80:81]                                   // 0000000072A0: BEFE0150
	buffer_load_dword v45, v249, s[20:23], 0 idxen             // 0000000072A4: E0502000 80052DF9
	s_mov_b32 exec_lo, -1                                      // 0000000072AC: BEFE00C1
	s_mov_b32 exec_hi, -1                                      // 0000000072B0: BEFF00C1
	v_mfma_f32_16x16x16_f16 v[132:135], v[48:49], a[50:51], 0  // 0000000072B4: D3CD0084 12026530
	v_mov_b32_dpp v127, v124 quad_perm:[3,3,3,3] row_mask:0xf bank_mask:0xf// 0000000072BC: 7EFE02FA FF00FF7C
	v_mov_b32_dpp v126, v124 quad_perm:[2,2,2,2] row_mask:0xf bank_mask:0xf// 0000000072C4: 7EFC02FA FF00AA7C
	v_mfma_f32_16x16x16_f16 v[132:135], v[50:51], a[54:55], v[132:135]// 0000000072CC: D3CD0084 16126D32
	ds_read_b128 v[100:103], v10 offset:10880                  // 0000000072D4: D9FE2A80 6400000A
	v_mov_b32_e32 v46, 0                                       // 0000000072DC: 7E5C0280
	s_mov_b64 exec, s[80:81]                                   // 0000000072E0: BEFE0150
	buffer_load_dword v46, v250, s[20:23], 0 idxen             // 0000000072E4: E0502000 80052EFA
	s_mov_b32 exec_lo, -1                                      // 0000000072EC: BEFE00C1
	s_mov_b32 exec_hi, -1                                      // 0000000072F0: BEFF00C1
	v_mfma_f32_16x16x16_f16 v[132:135], v[52:53], a[58:59], v[132:135]// 0000000072F4: D3CD0084 16127534
	v_mov_b32_dpp v125, v124 quad_perm:[1,1,1,1] row_mask:0xf bank_mask:0xf// 0000000072FC: 7EFA02FA FF00557C
	v_mov_b32_dpp v124, v124 quad_perm:[0,0,0,0] row_mask:0xf bank_mask:0xf// 000000007304: 7EF802FA FF00007C
	s_add_u32 s60, 64, s59                                     // 00000000730C: 803C3BC0
	v_mfma_f32_16x16x16_f16 v[132:135], v[54:55], a[62:63], v[132:135]// 000000007310: D3CD0084 16127D36
	ds_read_b128 v[104:107], v10 offset:11392                  // 000000007318: D9FE2C80 6800000A
	v_mov_b32_e32 v47, 0                                       // 000000007320: 7E5E0280
	s_mov_b64 exec, s[80:81]                                   // 000000007324: BEFE0150
	buffer_load_dword v47, v251, s[20:23], 0 idxen             // 000000007328: E0502000 80052FFB
	s_mov_b32 exec_lo, -1                                      // 000000007330: BEFE00C1
	s_mov_b32 exec_hi, -1                                      // 000000007334: BEFF00C1
	v_mfma_f32_16x16x16_f16 v[132:135], v[56:57], a[66:67], v[132:135]// 000000007338: D3CD0084 16128538
	s_cmp_lt_u32 s60, s58                                      // 000000007340: BF0A3A3C
	s_cselect_b32 s68, s68, 0                                  // 000000007344: 85448044
	s_cselect_b32 s100, s100, 0                                // 000000007348: 85648064
	s_cselect_b32 s69, s69, 0                                  // 00000000734C: 85458045
	v_mfma_f32_16x16x16_f16 v[132:135], v[58:59], a[70:71], v[132:135]// 000000007350: D3CD0084 16128D3A
	buffer_load_dword v9, s[24:27], 0 idxen lds                // 000000007358: E0512000 80060009
	v_mfma_f32_16x16x16_f16 v[132:135], v[60:61], a[74:75], v[132:135]// 000000007360: D3CD0084 1612953C
	v_add_u32_e32 v1, s68, v1                                  // 000000007368: 68020244
	v_add_u32_e32 v2, s68, v2                                  // 00000000736C: 68040444
	v_add_u32_e32 v3, s68, v3                                  // 000000007370: 68060644
	v_add_u32_e32 v4, s68, v4                                  // 000000007374: 68080844
	v_mfma_f32_16x16x16_f16 v[132:135], v[62:63], a[78:79], v[132:135]// 000000007378: D3CD0084 16129D3E
	v_add_u32_e32 v248, s100, v248                             // 000000007380: 69F1F064
	v_add_u32_e32 v249, s100, v249                             // 000000007384: 69F3F264
	v_add_u32_e32 v250, s100, v250                             // 000000007388: 69F5F464
	v_add_u32_e32 v251, s100, v251                             // 00000000738C: 69F7F664
	v_mfma_f32_16x16x16_f16 v[132:135], v[64:65], a[82:83], v[132:135]// 000000007390: D3CD0084 1612A540
	s_mov_b32 m0, s78                                          // 000000007398: BEFC004E
	v_add_u32_e32 v9, s69, v9                                  // 00000000739C: 68121245
	v_mfma_f32_16x16x16_f16 v[132:135], v[66:67], a[86:87], v[132:135]// 0000000073A0: D3CD0084 1612AD42
	s_cmp_ge_u32 s59, s73                                      // 0000000073A8: BF09493B
	s_cselect_b32 s66, s67, s66                                // 0000000073AC: 85424243
	v_mfma_f32_16x16x16_f16 v[132:135], v[68:69], a[90:91], v[132:135]// 0000000073B0: D3CD0084 1612B544
	s_addk_i32 s59, 0x10                                       // 0000000073B8: B73B0010
	s_nop 0                                                    // 0000000073BC: BF800000
	s_cmp_lt_i32 s59, s58                                      // 0000000073C0: BF043A3B
	v_mfma_f32_16x16x16_f16 v[132:135], v[70:71], a[94:95], v[132:135]// 0000000073C4: D3CD0084 1612BD46
	s_cbranch_scc0 label_106E                                  // 0000000073CC: BF8402F0
	s_waitcnt lgkmcnt(0)                                       // 0000000073D0: BF8CC07F
	s_barrier                                                  // 0000000073D4: BF8A0000
	v_mfma_f32_16x16x16_f16 v[48:51], a[144:145], a[0:1], 0    // 0000000073D8: D3CD0030 1A020190
	ds_write_b32 v11, v40 offset:8704                          // 0000000073E0: D81A2200 0000280B
	ds_write_b32 v11, v41 offset:9760                          // 0000000073E8: D81A2620 0000290B
	v_mfma_f32_16x16x16_f16 v[48:51], a[146:147], a[2:3], v[48:51]// 0000000073F0: D3CD0030 1CC20592
	v_mul_f32_e32 v128, s47, v128                              // 0000000073F8: 0B01002F
	v_mul_f32_e32 v129, s47, v129                              // 0000000073FC: 0B03022F
	v_mfma_f32_16x16x16_f16 v[48:51], a[148:149], a[4:5], v[48:51]// 000000007400: D3CD0030 1CC20994
	ds_write_b32 v11, v42 offset:8832                          // 000000007408: D81A2280 00002A0B
	ds_write_b32 v11, v43 offset:9888                          // 000000007410: D81A26A0 00002B0B
	v_mfma_f32_16x16x16_f16 v[48:51], a[150:151], a[6:7], v[48:51]// 000000007418: D3CD0030 1CC20D96
	v_mul_f32_e32 v130, s47, v130                              // 000000007420: 0B05042F
	v_mul_f32_e32 v131, s47, v131                              // 000000007424: 0B07062F
	v_mfma_f32_16x16x16_f16 v[48:51], a[152:153], a[8:9], v[48:51]// 000000007428: D3CD0030 1CC21198
	ds_write_b64 v20, v[128:129] offset:24320                  // 000000007430: D89A5F00 00008014
	v_mfma_f32_16x16x16_f16 v[48:51], a[154:155], a[10:11], v[48:51]// 000000007438: D3CD0030 1CC2159A
	v_mul_f32_e32 v132, s47, v132                              // 000000007440: 0B09082F
	v_mul_f32_e32 v133, s47, v133                              // 000000007444: 0B0B0A2F
	v_mfma_f32_16x16x16_f16 v[48:51], a[156:157], a[12:13], v[48:51]// 000000007448: D3CD0030 1CC2199C
	ds_write_b64 v20, v[130:131] offset:24832                  // 000000007450: D89A6100 00008214
	v_mfma_f32_16x16x16_f16 v[48:51], a[158:159], a[14:15], v[48:51]// 000000007458: D3CD0030 1CC21D9E
	v_mul_f32_e32 v134, s47, v134                              // 000000007460: 0B0D0C2F
	v_mul_f32_e32 v135, s47, v135                              // 000000007464: 0B0F0E2F
	v_mfma_f32_16x16x16_f16 v[52:55], a[144:145], a[16:17], 0  // 000000007468: D3CD0034 1A022190
	ds_write_b64 v20, v[132:133] offset:25344                  // 000000007470: D89A6300 00008414
	v_mfma_f32_16x16x16_f16 v[52:55], a[146:147], a[18:19], v[52:55]// 000000007478: D3CD0034 1CD22592
	buffer_atomic_add_f32 v140, v7, s[32:35], 0 offen offset:256// 000000007480: E1341100 80088C07
	v_mfma_f32_16x16x16_f16 v[52:55], a[148:149], a[20:21], v[52:55]// 000000007488: D3CD0034 1CD22994
	ds_write_b64 v20, v[134:135] offset:25856                  // 000000007490: D89A6500 00008614
	v_mfma_f32_16x16x16_f16 v[52:55], a[150:151], a[22:23], v[52:55]// 000000007498: D3CD0034 1CD22D96
	v_mfma_f32_16x16x16_f16 v[52:55], a[152:153], a[24:25], v[52:55]// 0000000074A0: D3CD0034 1CD23198
	ds_read_b128 v[108:111], v12 offset:13056                  // 0000000074A8: D9FE3300 6C00000C
	ds_write_b32 v11, v32                                      // 0000000074B0: D81A0000 0000200B
	v_mfma_f32_16x16x16_f16 v[52:55], a[154:155], a[26:27], v[52:55]// 0000000074B8: D3CD0034 1CD2359A
	buffer_atomic_add_f32 v141, v8, s[32:35], 0 offen offset:256// 0000000074C0: E1341100 80088D08
	v_mfma_f32_16x16x16_f16 v[52:55], a[156:157], a[28:29], v[52:55]// 0000000074C8: D3CD0034 1CD2399C
	v_mfma_f32_16x16x16_f16 v[52:55], a[158:159], a[30:31], v[52:55]// 0000000074D0: D3CD0034 1CD23D9E
	ds_read_b128 v[112:115], v12 offset:13568                  // 0000000074D8: D9FE3500 7000000C
	ds_write_b32 v11, v33 offset:1056                          // 0000000074E0: D81A0420 0000210B
	v_mfma_f32_16x16x16_f16 v[56:59], a[144:145], a[32:33], 0  // 0000000074E8: D3CD0038 1A024190
	buffer_atomic_add_f32 v142, v7, s[32:35], 0 offen offset:384// 0000000074F0: E1341180 80088E07
	v_mfma_f32_16x16x16_f16 v[56:59], a[146:147], a[34:35], v[56:59]// 0000000074F8: D3CD0038 1CE24592
	v_mfma_f32_16x16x16_f16 v[56:59], a[148:149], a[36:37], v[56:59]// 000000007500: D3CD0038 1CE24994
	ds_read_b128 v[116:119], v12 offset:15232                  // 000000007508: D9FE3B80 7400000C
	ds_write_b32 v11, v34 offset:128                           // 000000007510: D81A0080 0000220B
	v_mfma_f32_16x16x16_f16 v[56:59], a[150:151], a[38:39], v[56:59]// 000000007518: D3CD0038 1CE24D96
	v_mfma_f32_16x16x16_f16 v[56:59], a[152:153], a[40:41], v[56:59]// 000000007520: D3CD0038 1CE25198
	buffer_atomic_add_f32 v143, v8, s[32:35], 0 offen offset:384// 000000007528: E1341180 80088F08
	v_mfma_f32_16x16x16_f16 v[56:59], a[154:155], a[42:43], v[56:59]// 000000007530: D3CD0038 1CE2559A
	ds_read_b128 v[120:123], v12 offset:15744                  // 000000007538: D9FE3D80 7800000C
	ds_write_b32 v11, v35 offset:1184                          // 000000007540: D81A04A0 0000230B
	v_mfma_f32_16x16x16_f16 v[56:59], a[156:157], a[44:45], v[56:59]// 000000007548: D3CD0038 1CE2599C
	v_mfma_f32_16x16x16_f16 v[56:59], a[158:159], a[46:47], v[56:59]// 000000007550: D3CD0038 1CE25D9E
	s_cmp_eq_i32 s82, 0                                        // 000000007558: BF008052
	s_cbranch_scc1 label_0E71                                  // 00000000755C: BF85008F
	s_cmp_lt_i32 s74, 12                                       // 000000007560: BF048C4A
	s_cbranch_scc0 label_0E1C                                  // 000000007564: BF84003D
	s_lshl_b32 s60, s74, 4                                     // 000000007568: 8E3C844A
	v_sub_i32 v28, v252, s60                                   // 00000000756C: D29D001C 000079FC
	s_mov_b32 s61, 0                                           // 000000007574: BEBD0080
	v_add_i32 v29, v28, s61                                    // 000000007578: D29C001D 00007B1C
	v_cmp_gt_i32_e64 s[88:89], v29, 0                          // 000000007580: D0C40058 0001011D
	v_cmp_gt_i32_e64 s[92:93], v29, 1                          // 000000007588: D0C4005C 0001031D
	v_cndmask_b32_e64 v48, v48, v151, s[88:89]                 // 000000007590: D1000030 01632F30
	v_cndmask_b32_e64 v49, v49, v151, s[92:93]                 // 000000007598: D1000031 01732F31
	v_cmp_gt_i32_e64 s[88:89], v29, 2                          // 0000000075A0: D0C40058 0001051D
	v_cmp_gt_i32_e64 s[92:93], v29, 3                          // 0000000075A8: D0C4005C 0001071D
	v_cndmask_b32_e64 v50, v50, v151, s[88:89]                 // 0000000075B0: D1000032 01632F32
	v_cndmask_b32_e64 v51, v51, v151, s[92:93]                 // 0000000075B8: D1000033 01732F33
	s_mov_b32 s61, 64                                          // 0000000075C0: BEBD00C0
	v_add_i32 v29, v28, s61                                    // 0000000075C4: D29C001D 00007B1C
	v_cmp_gt_i32_e64 s[88:89], v29, 0                          // 0000000075CC: D0C40058 0001011D
	v_cmp_gt_i32_e64 s[92:93], v29, 1                          // 0000000075D4: D0C4005C 0001031D
	v_cndmask_b32_e64 v52, v52, v151, s[88:89]                 // 0000000075DC: D1000034 01632F34
	v_cndmask_b32_e64 v53, v53, v151, s[92:93]                 // 0000000075E4: D1000035 01732F35
	v_cmp_gt_i32_e64 s[88:89], v29, 2                          // 0000000075EC: D0C40058 0001051D
	v_cmp_gt_i32_e64 s[92:93], v29, 3                          // 0000000075F4: D0C4005C 0001071D
	v_cndmask_b32_e64 v54, v54, v151, s[88:89]                 // 0000000075FC: D1000036 01632F36
	v_cndmask_b32_e64 v55, v55, v151, s[92:93]                 // 000000007604: D1000037 01732F37
	s_mov_b32 s61, 0x80                                        // 00000000760C: BEBD00FF 00000080
	v_add_i32 v29, v28, s61                                    // 000000007614: D29C001D 00007B1C
	v_cmp_gt_i32_e64 s[88:89], v29, 0                          // 00000000761C: D0C40058 0001011D
	v_cmp_gt_i32_e64 s[92:93], v29, 1                          // 000000007624: D0C4005C 0001031D
	v_cndmask_b32_e64 v56, v56, v151, s[88:89]                 // 00000000762C: D1000038 01632F38
	v_cndmask_b32_e64 v57, v57, v151, s[92:93]                 // 000000007634: D1000039 01732F39
	v_cmp_gt_i32_e64 s[88:89], v29, 2                          // 00000000763C: D0C40058 0001051D
	v_cmp_gt_i32_e64 s[92:93], v29, 3                          // 000000007644: D0C4005C 0001071D
	v_cndmask_b32_e64 v58, v58, v151, s[88:89]                 // 00000000764C: D100003A 01632F3A
	v_cndmask_b32_e64 v59, v59, v151, s[92:93]                 // 000000007654: D100003B 01732F3B

000000000000765c <label_0E1C>:
	s_cmp_lt_i32 s84, 0xc0                                     // 00000000765C: BF04FF54 000000C0
	s_cbranch_scc0 label_0E71                                  // 000000007664: BF84004D
	s_cmp_le_i32 s84, 64                                       // 000000007668: BF05C054
	s_cbranch_scc1 label_0E28                                  // 00000000766C: BF850007
	s_cmp_le_i32 s84, 0x80                                     // 000000007670: BF05FF54 00000080
	s_cbranch_scc1 label_0E40                                  // 000000007678: BF850017
	s_cmp_lt_i32 s84, 0xc0                                     // 00000000767C: BF04FF54 000000C0
	s_cbranch_scc1 label_0E58                                  // 000000007684: BF85002C
	s_branch label_0E71                                        // 000000007688: BF820044

000000000000768c <label_0E28>:
	s_mov_b32 s60, 0                                           // 00000000768C: BEBC0080
	v_and_b32_e32 v28, 15, v0                                  // 000000007690: 2638008F
	v_add_u32_e64 v28, v28, s60                                // 000000007694: D134001C 0000791C
	v_mul_i32_i24_e64 v29, s46, 16                             // 00000000769C: D106001D 0001202E
	v_add_u32_e32 v28, v28, v29                                // 0000000076A4: 68383B1C
	v_cmp_lt_u32_e64 s[60:61], v28, s84                        // 0000000076A8: D0C9003C 0000A91C
	s_nop 1                                                    // 0000000076B0: BF800001
	v_cndmask_b32_e64 v48, v151, v48, s[60:61]                 // 0000000076B4: D1000030 00F26197
	v_cndmask_b32_e64 v49, v151, v49, s[60:61]                 // 0000000076BC: D1000031 00F26397
	v_cndmask_b32_e64 v50, v151, v50, s[60:61]                 // 0000000076C4: D1000032 00F26597
	v_cndmask_b32_e64 v51, v151, v51, s[60:61]                 // 0000000076CC: D1000033 00F26797
	s_branch label_0E53                                        // 0000000076D4: BF820013

00000000000076d8 <label_0E40>:
	s_mov_b32 s60, 64                                          // 0000000076D8: BEBC00C0
	v_and_b32_e32 v28, 15, v0                                  // 0000000076DC: 2638008F
	v_add_u32_e64 v28, v28, s60                                // 0000000076E0: D134001C 0000791C
	v_mul_i32_i24_e64 v29, s46, 16                             // 0000000076E8: D106001D 0001202E
	v_add_u32_e32 v28, v28, v29                                // 0000000076F0: 68383B1C
	v_cmp_lt_u32_e64 s[60:61], v28, s84                        // 0000000076F4: D0C9003C 0000A91C
	s_nop 1                                                    // 0000000076FC: BF800001
	v_cndmask_b32_e64 v52, v151, v52, s[60:61]                 // 000000007700: D1000034 00F26997
	v_cndmask_b32_e64 v53, v151, v53, s[60:61]                 // 000000007708: D1000035 00F26B97
	v_cndmask_b32_e64 v54, v151, v54, s[60:61]                 // 000000007710: D1000036 00F26D97
	v_cndmask_b32_e64 v55, v151, v55, s[60:61]                 // 000000007718: D1000037 00F26F97
	s_branch label_0E6C                                        // 000000007720: BF820019

0000000000007724 <label_0E53>:
	v_mov_b32_e32 v52, v151                                    // 000000007724: 7E680397
	v_mov_b32_e32 v53, v151                                    // 000000007728: 7E6A0397
	v_mov_b32_e32 v54, v151                                    // 00000000772C: 7E6C0397
	v_mov_b32_e32 v55, v151                                    // 000000007730: 7E6E0397
	s_branch label_0E6C                                        // 000000007734: BF820014

0000000000007738 <label_0E58>:
	s_mov_b32 s60, 0x80                                        // 000000007738: BEBC00FF 00000080
	v_and_b32_e32 v28, 15, v0                                  // 000000007740: 2638008F
	v_add_u32_e64 v28, v28, s60                                // 000000007744: D134001C 0000791C
	v_mul_i32_i24_e64 v29, s46, 16                             // 00000000774C: D106001D 0001202E
	v_add_u32_e32 v28, v28, v29                                // 000000007754: 68383B1C
	v_cmp_lt_u32_e64 s[60:61], v28, s84                        // 000000007758: D0C9003C 0000A91C
	s_nop 1                                                    // 000000007760: BF800001
	v_cndmask_b32_e64 v56, v151, v56, s[60:61]                 // 000000007764: D1000038 00F27197
	v_cndmask_b32_e64 v57, v151, v57, s[60:61]                 // 00000000776C: D1000039 00F27397
	v_cndmask_b32_e64 v58, v151, v58, s[60:61]                 // 000000007774: D100003A 00F27597
	v_cndmask_b32_e64 v59, v151, v59, s[60:61]                 // 00000000777C: D100003B 00F27797
	s_branch label_0E71                                        // 000000007784: BF820005

0000000000007788 <label_0E6C>:
	v_mov_b32_e32 v56, v151                                    // 000000007788: 7E700397
	v_mov_b32_e32 v57, v151                                    // 00000000778C: 7E720397
	v_mov_b32_e32 v58, v151                                    // 000000007790: 7E740397
	v_mov_b32_e32 v59, v151                                    // 000000007794: 7E760397
	s_branch label_0E71                                        // 000000007798: BF820000

000000000000779c <label_0E71>:
	s_addk_i32 s74, 0x1                                        // 00000000779C: B74A0001
	s_waitcnt lgkmcnt(8)                                       // 0000000077A0: BF8CC87F
	s_barrier                                                  // 0000000077A4: BF8A0000
	v_mfma_f32_16x16x16_f16 v[72:75], v[92:93], a[96:97], 0    // 0000000077A8: D3CD0048 1202C15C
	ds_read_b128 a[144:147], v12 offset:4352                   // 0000000077B0: DBFE1100 9000000C
	ds_read_b128 a[148:151], v12 offset:4864                   // 0000000077B8: DBFE1300 9400000C
	v_mfma_f32_16x16x16_f16 v[72:75], v[94:95], a[98:99], v[72:75]// 0000000077C0: D3CD0048 1522C55E
	v_fma_f32 v48, v48, s57, -v124                             // 0000000077C8: D1CB0030 85F07330
	v_fma_f32 v49, v49, s57, -v125                             // 0000000077D0: D1CB0031 85F47331
	v_fma_f32 v50, v50, s57, -v126                             // 0000000077D8: D1CB0032 85F87332
	v_mfma_f32_16x16x16_f16 v[72:75], v[96:97], a[100:101], v[72:75]// 0000000077E0: D3CD0048 1522C960
	v_fma_f32 v51, v51, s57, -v127                             // 0000000077E8: D1CB0033 85FC7333
	v_fma_f32 v52, v52, s57, -v124                             // 0000000077F0: D1CB0034 85F07334
	v_fma_f32 v53, v53, s57, -v125                             // 0000000077F8: D1CB0035 85F47335
	v_mfma_f32_16x16x16_f16 v[72:75], v[98:99], a[102:103], v[72:75]// 000000007800: D3CD0048 1522CD62
	v_fma_f32 v54, v54, s57, -v126                             // 000000007808: D1CB0036 85F87336
	v_fma_f32 v55, v55, s57, -v127                             // 000000007810: D1CB0037 85FC7337
	v_fma_f32 v56, v56, s57, -v124                             // 000000007818: D1CB0038 85F07338
	v_mfma_f32_16x16x16_f16 v[72:75], v[100:101], a[104:105], v[72:75]// 000000007820: D3CD0048 1522D164
	ds_read_b128 a[152:155], v12 offset:6528                   // 000000007828: DBFE1980 9800000C
	ds_read_b128 a[156:159], v12 offset:7040                   // 000000007830: DBFE1B80 9C00000C
	v_mfma_f32_16x16x16_f16 v[72:75], v[102:103], a[106:107], v[72:75]// 000000007838: D3CD0048 1522D566
	v_fma_f32 v57, v57, s57, -v125                             // 000000007840: D1CB0039 85F47339
	v_fma_f32 v58, v58, s57, -v126                             // 000000007848: D1CB003A 85F8733A
	v_fma_f32 v59, v59, s57, -v127                             // 000000007850: D1CB003B 85FC733B
	v_mfma_f32_16x16x16_f16 v[72:75], v[104:105], a[108:109], v[72:75]// 000000007858: D3CD0048 1522D968
	v_exp_f32_e32 v48, v48                                     // 000000007860: 7E604130
	v_mfma_f32_16x16x16_f16 v[72:75], v[106:107], a[110:111], v[72:75]// 000000007864: D3CD0048 1522DD6A
	v_exp_f32_e32 v49, v49                                     // 00000000786C: 7E624131
	v_mfma_f32_16x16x16_f16 v[76:79], v[92:93], a[112:113], 0  // 000000007870: D3CD004C 1202E15C
	ds_read_b64 v[136:137], v19 offset:24320                   // 000000007878: D8EC5F00 88000013
	ds_read_b64 v[138:139], v19 offset:26368                   // 000000007880: D8EC6700 8A000013
	v_mfma_f32_16x16x16_f16 v[76:79], v[94:95], a[114:115], v[76:79]// 000000007888: D3CD004C 1532E55E
	v_exp_f32_e32 v50, v50                                     // 000000007890: 7E644132
	v_mfma_f32_16x16x16_f16 v[76:79], v[96:97], a[116:117], v[76:79]// 000000007894: D3CD004C 1532E960
	ds_read_b64 v[140:141], v19 offset:28416                   // 00000000789C: D8EC6F00 8C000013
	ds_read_b64 v[142:143], v19 offset:30464                   // 0000000078A4: D8EC7700 8E000013
	v_mfma_f32_16x16x16_f16 v[76:79], v[98:99], a[118:119], v[76:79]// 0000000078AC: D3CD004C 1532ED62
	v_exp_f32_e32 v51, v51                                     // 0000000078B4: 7E664133
	v_mfma_f32_16x16x16_f16 v[76:79], v[100:101], a[120:121], v[76:79]// 0000000078B8: D3CD004C 1532F164
	v_exp_f32_e32 v52, v52                                     // 0000000078C0: 7E684134
	v_mfma_f32_16x16x16_f16 v[76:79], v[102:103], a[122:123], v[76:79]// 0000000078C4: D3CD004C 1532F566
	v_exp_f32_e32 v53, v53                                     // 0000000078CC: 7E6A4135
	v_mfma_f32_16x16x16_f16 v[76:79], v[104:105], a[124:125], v[76:79]// 0000000078D0: D3CD004C 1532F968
	v_exp_f32_e32 v54, v54                                     // 0000000078D8: 7E6C4136
	v_mfma_f32_16x16x16_f16 v[76:79], v[106:107], a[126:127], v[76:79]// 0000000078DC: D3CD004C 1532FD6A
	v_exp_f32_e32 v55, v55                                     // 0000000078E4: 7E6E4137
	v_mfma_f32_16x16x16_f16 v[80:83], v[92:93], a[128:129], 0  // 0000000078E8: D3CD0050 1203015C
	v_exp_f32_e32 v56, v56                                     // 0000000078F0: 7E704138
	v_mfma_f32_16x16x16_f16 v[80:83], v[94:95], a[130:131], v[80:83]// 0000000078F4: D3CD0050 1543055E
	v_exp_f32_e32 v57, v57                                     // 0000000078FC: 7E724139
	v_mfma_f32_16x16x16_f16 v[80:83], v[96:97], a[132:133], v[80:83]// 000000007900: D3CD0050 15430960
	v_exp_f32_e32 v58, v58                                     // 000000007908: 7E74413A
	v_mfma_f32_16x16x16_f16 v[80:83], v[98:99], a[134:135], v[80:83]// 00000000790C: D3CD0050 15430D62
	v_exp_f32_e32 v59, v59                                     // 000000007914: 7E76413B
	v_mfma_f32_16x16x16_f16 v[80:83], v[100:101], a[136:137], v[80:83]// 000000007918: D3CD0050 15431164
	v_cvt_pkrtz_f16_f32 v144, v48, v49                         // 000000007920: D2960090 00026330
	v_cvt_pkrtz_f16_f32 v145, v50, v51                         // 000000007928: D2960091 00026732
	v_cvt_pkrtz_f16_f32 v146, v52, v53                         // 000000007930: D2960092 00026B34
	v_mfma_f32_16x16x16_f16 v[80:83], v[102:103], a[138:139], v[80:83]// 000000007938: D3CD0050 15431566
	v_cvt_pkrtz_f16_f32 v147, v54, v55                         // 000000007940: D2960093 00026F36
	v_cvt_pkrtz_f16_f32 v148, v56, v57                         // 000000007948: D2960094 00027338
	v_cvt_pkrtz_f16_f32 v149, v58, v59                         // 000000007950: D2960095 0002773A
	v_mfma_f32_16x16x16_f16 v[80:83], v[104:105], a[140:141], v[80:83]// 000000007958: D3CD0050 15431968
	v_add_u32_e32 v7, s66, v7                                  // 000000007960: 680E0E42
	v_add_u32_e32 v8, s66, v8                                  // 000000007964: 68101042
	v_mfma_f32_16x16x16_f16 v[80:83], v[106:107], a[142:143], v[80:83]// 000000007968: D3CD0050 15431D6A
	s_waitcnt lgkmcnt(0)                                       // 000000007970: BF8CC07F
	s_barrier                                                  // 000000007974: BF8A0000
	v_mfma_f32_16x16x16_f16 v[152:155], v[108:109], v[144:145], v[152:155]// 000000007978: D3CD0098 0663216C
	v_subrev_f32_dpp v72, v150, v72 quad_perm:[0,0,0,0] row_mask:0xf bank_mask:0xf// 000000007980: 069090FA FF000096
	v_subrev_f32_dpp v73, v150, v73 quad_perm:[1,1,1,1] row_mask:0xf bank_mask:0xf// 000000007988: 069292FA FF005596
	v_subrev_f32_dpp v74, v150, v74 quad_perm:[2,2,2,2] row_mask:0xf bank_mask:0xf// 000000007990: 069494FA FF00AA96
	v_mfma_f32_16x16x16_f16 v[156:159], v[110:111], v[144:145], v[156:159]// 000000007998: D3CD009C 0673216E
	v_subrev_f32_dpp v75, v150, v75 quad_perm:[3,3,3,3] row_mask:0xf bank_mask:0xf// 0000000079A0: 069696FA FF00FF96
	v_subrev_f32_dpp v76, v150, v76 quad_perm:[0,0,0,0] row_mask:0xf bank_mask:0xf// 0000000079A8: 069898FA FF000096
	v_subrev_f32_dpp v77, v150, v77 quad_perm:[1,1,1,1] row_mask:0xf bank_mask:0xf// 0000000079B0: 069A9AFA FF005596
	v_mfma_f32_16x16x16_f16 v[160:163], v[112:113], v[144:145], v[160:163]// 0000000079B8: D3CD00A0 06832170
	v_mul_f32_e32 v72, v48, v72                                // 0000000079C0: 0A909130
	v_mul_f32_e32 v73, v49, v73                                // 0000000079C4: 0A929331
	v_mul_f32_e32 v74, v50, v74                                // 0000000079C8: 0A949532
	v_mfma_f32_16x16x16_f16 v[164:167], v[114:115], v[144:145], v[164:167]// 0000000079CC: D3CD00A4 06932172
	v_mul_f32_e32 v75, v51, v75                                // 0000000079D4: 0A969733
	v_mul_f32_e32 v76, v52, v76                                // 0000000079D8: 0A989934
	v_mul_f32_e32 v77, v53, v77                                // 0000000079DC: 0A9A9B35
	v_mfma_f32_16x16x16_f16 v[168:171], v[116:117], v[144:145], v[168:171]// 0000000079E0: D3CD00A8 06A32174
	v_cvt_pkrtz_f16_f32 v72, v72, v73                          // 0000000079E8: D2960048 00029348
	v_cvt_pkrtz_f16_f32 v73, v74, v75                          // 0000000079F0: D2960049 0002974A
	v_cvt_pkrtz_f16_f32 v74, v76, v77                          // 0000000079F8: D296004A 00029B4C
	v_mfma_f32_16x16x16_f16 v[172:175], v[118:119], v[144:145], v[172:175]// 000000007A00: D3CD00AC 06B32176
	v_mov_b32_dpp v16, v72 quad_perm:[1,0,3,2] row_mask:0xf bank_mask:0xf// 000000007A08: 7E2002FA FF00B148
	v_perm_b32 v48, v16, v72, v15                              // 000000007A10: D1ED0030 043E9110
	v_mov_b32_dpp v16, v73 quad_perm:[1,0,3,2] row_mask:0xf bank_mask:0xf// 000000007A18: 7E2002FA FF00B149
	v_mfma_f32_16x16x16_f16 v[176:179], v[120:121], v[144:145], v[176:179]// 000000007A20: D3CD00B0 06C32178
	v_perm_b32 v49, v16, v73, v15                              // 000000007A28: D1ED0031 043E9310
	v_mov_b32_dpp v16, v74 quad_perm:[1,0,3,2] row_mask:0xf bank_mask:0xf// 000000007A30: 7E2002FA FF00B14A
	v_perm_b32 v50, v16, v74, v15                              // 000000007A38: D1ED0032 043E9510
	v_mfma_f32_16x16x16_f16 v[180:183], v[122:123], v[144:145], v[180:183]// 000000007A40: D3CD00B4 06D3217A
	ds_write_b32 v18, v48 offset:17408                         // 000000007A48: D81A4400 00003012
	v_mfma_f32_16x16x16_f16 v[184:187], v[108:109], v[146:147], v[184:187]// 000000007A50: D3CD00B8 06E3256C
	v_subrev_f32_dpp v78, v150, v78 quad_perm:[2,2,2,2] row_mask:0xf bank_mask:0xf// 000000007A58: 069C9CFA FF00AA96
	v_subrev_f32_dpp v79, v150, v79 quad_perm:[3,3,3,3] row_mask:0xf bank_mask:0xf// 000000007A60: 069E9EFA FF00FF96
	v_subrev_f32_dpp v80, v150, v80 quad_perm:[0,0,0,0] row_mask:0xf bank_mask:0xf// 000000007A68: 06A0A0FA FF000096
	v_mfma_f32_16x16x16_f16 v[188:191], v[110:111], v[146:147], v[188:191]// 000000007A70: D3CD00BC 06F3256E
	ds_write_b32 v18, v49 offset:17952                         // 000000007A78: D81A4620 00003112
	v_mfma_f32_16x16x16_f16 v[192:195], v[112:113], v[146:147], v[192:195]// 000000007A80: D3CD00C0 07032570
	v_subrev_f32_dpp v81, v150, v81 quad_perm:[1,1,1,1] row_mask:0xf bank_mask:0xf// 000000007A88: 06A2A2FA FF005596
	v_subrev_f32_dpp v82, v150, v82 quad_perm:[2,2,2,2] row_mask:0xf bank_mask:0xf// 000000007A90: 06A4A4FA FF00AA96
	v_subrev_f32_dpp v83, v150, v83 quad_perm:[3,3,3,3] row_mask:0xf bank_mask:0xf// 000000007A98: 06A6A6FA FF00FF96
	v_mfma_f32_16x16x16_f16 v[196:199], v[114:115], v[146:147], v[196:199]// 000000007AA0: D3CD00C4 07132572
	ds_write_b32 v18, v50 offset:19712                         // 000000007AA8: D81A4D00 00003212
	v_mfma_f32_16x16x16_f16 v[200:203], v[116:117], v[146:147], v[200:203]// 000000007AB0: D3CD00C8 07232574
	v_mul_f32_e32 v78, v54, v78                                // 000000007AB8: 0A9C9D36
	v_mul_f32_e32 v79, v55, v79                                // 000000007ABC: 0A9E9F37
	v_mul_f32_e32 v80, v56, v80                                // 000000007AC0: 0AA0A138
	v_mfma_f32_16x16x16_f16 v[204:207], v[118:119], v[146:147], v[204:207]// 000000007AC4: D3CD00CC 07332576
	v_mul_f32_e32 v81, v57, v81                                // 000000007ACC: 0AA2A339
	v_mul_f32_e32 v82, v58, v82                                // 000000007AD0: 0AA4A53A
	v_mul_f32_e32 v83, v59, v83                                // 000000007AD4: 0AA6A73B
	v_mfma_f32_16x16x16_f16 v[208:211], v[120:121], v[146:147], v[208:211]// 000000007AD8: D3CD00D0 07432578
	v_cvt_pkrtz_f16_f32 v75, v78, v79                          // 000000007AE0: D296004B 00029F4E
	v_cvt_pkrtz_f16_f32 v76, v80, v81                          // 000000007AE8: D296004C 0002A350
	v_cvt_pkrtz_f16_f32 v77, v82, v83                          // 000000007AF0: D296004D 0002A752
	v_mfma_f32_16x16x16_f16 v[212:215], v[122:123], v[146:147], v[212:215]// 000000007AF8: D3CD00D4 0753257A
	v_mov_b32_dpp v16, v75 quad_perm:[1,0,3,2] row_mask:0xf bank_mask:0xf// 000000007B00: 7E2002FA FF00B14B
	v_perm_b32 v51, v16, v75, v15                              // 000000007B08: D1ED0033 043E9710
	v_mov_b32_dpp v16, v76 quad_perm:[1,0,3,2] row_mask:0xf bank_mask:0xf// 000000007B10: 7E2002FA FF00B14C
	v_mfma_f32_16x16x16_f16 v[216:219], v[108:109], v[148:149], v[216:219]// 000000007B18: D3CD00D8 0763296C
	v_perm_b32 v52, v16, v76, v15                              // 000000007B20: D1ED0034 043E9910
	v_mov_b32_dpp v16, v77 quad_perm:[1,0,3,2] row_mask:0xf bank_mask:0xf// 000000007B28: 7E2002FA FF00B14D
	v_perm_b32 v53, v16, v77, v15                              // 000000007B30: D1ED0035 043E9B10
	v_mfma_f32_16x16x16_f16 v[220:223], v[110:111], v[148:149], v[220:223]// 000000007B38: D3CD00DC 0773296E
	ds_write_b32 v18, v51 offset:20256                         // 000000007B40: D81A4F20 00003312
	v_mfma_f32_16x16x16_f16 v[224:227], v[112:113], v[148:149], v[224:227]// 000000007B48: D3CD00E0 07832970
	v_mfma_f32_16x16x16_f16 v[228:231], v[114:115], v[148:149], v[228:231]// 000000007B50: D3CD00E4 07932972
	ds_write_b32 v18, v52 offset:22016                         // 000000007B58: D81A5600 00003412
	ds_write_b32 v18, v53 offset:22560                         // 000000007B60: D81A5820 00003512
	v_mfma_f32_16x16x16_f16 v[232:235], v[116:117], v[148:149], v[232:235]// 000000007B68: D3CD00E8 07A32974
	v_mfma_f32_16x16x16_f16 v[236:239], v[118:119], v[148:149], v[236:239]// 000000007B70: D3CD00EC 07B32976
	ds_write_b32 v13, v84 offset:4352                          // 000000007B78: D81A1100 0000540D
	ds_write_b32 v13, v85 offset:5408                          // 000000007B80: D81A1520 0000550D
	v_mfma_f32_16x16x16_f16 v[240:243], v[120:121], v[148:149], v[240:243]// 000000007B88: D3CD00F0 07C32978
	s_nop 0                                                    // 000000007B90: BF800000
	s_nop 0                                                    // 000000007B94: BF800000
	s_nop 0                                                    // 000000007B98: BF800000
	v_mfma_f32_16x16x16_f16 v[244:247], v[122:123], v[148:149], v[244:247]// 000000007B9C: D3CD00F4 07D3297A
	ds_write_b32 v13, v86 offset:4480                          // 000000007BA4: D81A1180 0000560D
	ds_write_b32 v13, v87 offset:5536                          // 000000007BAC: D81A15A0 0000570D
	s_barrier                                                  // 000000007BB4: BF8A0000
	v_mfma_f32_16x16x16_f16 a[160:163], a[144:145], v[72:73], a[160:163]// 000000007BB8: D3CD80A0 0E829190
	buffer_atomic_add_f32 v136, v7, s[32:35], 0 offen          // 000000007BC0: E1341000 80088807
	v_mfma_f32_16x16x16_f16 a[164:167], a[146:147], v[72:73], a[164:167]// 000000007BC8: D3CD80A4 0E929192
	ds_read_b32 v124, v21 offset:50688                         // 000000007BD0: D86CC600 7C000015
	ds_read_b32 v150, v21 offset:50944                         // 000000007BD8: D86CC700 96000015
	v_mfma_f32_16x16x16_f16 a[168:171], a[148:149], v[72:73], a[168:171]// 000000007BE0: D3CD80A8 0EA29194
	s_waitcnt lgkmcnt(6)                                       // 000000007BE8: BF8CC67F
	s_barrier                                                  // 000000007BEC: BF8A0000
	v_mfma_f32_16x16x16_f16 a[172:175], a[150:151], v[72:73], a[172:175]// 000000007BF0: D3CD80AC 0EB29196
	ds_read_b128 v[48:51], v17 offset:17408                    // 000000007BF8: D9FE4400 30000011
	v_mfma_f32_16x16x16_f16 a[176:179], a[152:153], v[72:73], a[176:179]// 000000007C00: D3CD80B0 0EC29198
	v_mfma_f32_16x16x16_f16 a[180:183], a[154:155], v[72:73], a[180:183]// 000000007C08: D3CD80B4 0ED2919A
	ds_read_b128 v[52:55], v17 offset:18560                    // 000000007C10: D9FE4880 34000011
	v_mfma_f32_16x16x16_f16 a[184:187], a[156:157], v[72:73], a[184:187]// 000000007C18: D3CD80B8 0EE2919C
	buffer_atomic_add_f32 v137, v8, s[32:35], 0 offen          // 000000007C20: E1341000 80088908
	v_mfma_f32_16x16x16_f16 a[188:191], a[158:159], v[72:73], a[188:191]// 000000007C28: D3CD80BC 0EF2919E
	ds_read_b128 v[56:59], v17 offset:19712                    // 000000007C30: D9FE4D00 38000011
	v_mfma_f32_16x16x16_f16 a[192:195], a[144:145], v[74:75], a[192:195]// 000000007C38: D3CD80C0 0F029590
	v_mfma_f32_16x16x16_f16 a[196:199], a[146:147], v[74:75], a[196:199]// 000000007C40: D3CD80C4 0F129592
	ds_read_b128 v[60:63], v17 offset:20864                    // 000000007C48: D9FE5180 3C000011
	v_mfma_f32_16x16x16_f16 a[200:203], a[148:149], v[74:75], a[200:203]// 000000007C50: D3CD80C8 0F229594
	v_mfma_f32_16x16x16_f16 a[204:207], a[150:151], v[74:75], a[204:207]// 000000007C58: D3CD80CC 0F329596
	ds_read_b128 v[64:67], v17 offset:22016                    // 000000007C60: D9FE5600 40000011
	v_mfma_f32_16x16x16_f16 a[208:211], a[152:153], v[74:75], a[208:211]// 000000007C68: D3CD80D0 0F429598
	buffer_atomic_add_f32 v138, v7, s[32:35], 0 offen offset:128// 000000007C70: E1341080 80088A07
	v_mfma_f32_16x16x16_f16 a[212:215], a[154:155], v[74:75], a[212:215]// 000000007C78: D3CD80D4 0F52959A
	ds_read_b128 v[68:71], v17 offset:23168                    // 000000007C80: D9FE5A80 44000011
	v_mfma_f32_16x16x16_f16 a[216:219], a[156:157], v[74:75], a[216:219]// 000000007C88: D3CD80D8 0F62959C
	v_mfma_f32_16x16x16_f16 a[220:223], a[158:159], v[74:75], a[220:223]// 000000007C90: D3CD80DC 0F72959E
	ds_write_b32 v13, v88 offset:13056                         // 000000007C98: D81A3300 0000580D
	v_mfma_f32_16x16x16_f16 a[224:227], a[144:145], v[76:77], a[224:227]// 000000007CA0: D3CD80E0 0F829990
	v_mfma_f32_16x16x16_f16 a[228:231], a[146:147], v[76:77], a[228:231]// 000000007CA8: D3CD80E4 0F929992
	ds_write_b32 v13, v89 offset:14112                         // 000000007CB0: D81A3720 0000590D
	v_mfma_f32_16x16x16_f16 a[232:235], a[148:149], v[76:77], a[232:235]// 000000007CB8: D3CD80E8 0FA29994
	buffer_atomic_add_f32 v139, v8, s[32:35], 0 offen offset:128// 000000007CC0: E1341080 80088B08
	v_mfma_f32_16x16x16_f16 a[236:239], a[150:151], v[76:77], a[236:239]// 000000007CC8: D3CD80EC 0FB29996
	ds_write_b32 v13, v90 offset:13184                         // 000000007CD0: D81A3380 00005A0D
	v_mfma_f32_16x16x16_f16 a[240:243], a[152:153], v[76:77], a[240:243]// 000000007CD8: D3CD80F0 0FC29998
	v_mfma_f32_16x16x16_f16 a[244:247], a[154:155], v[76:77], a[244:247]// 000000007CE0: D3CD80F4 0FD2999A
	ds_write_b32 v13, v91 offset:14240                         // 000000007CE8: D81A37A0 00005B0D
	v_mfma_f32_16x16x16_f16 a[248:251], a[156:157], v[76:77], a[248:251]// 000000007CF0: D3CD80F8 0FE2999C
	v_mfma_f32_16x16x16_f16 a[252:255], a[158:159], v[76:77], a[252:255]// 000000007CF8: D3CD80FC 0FF2999E
	s_waitcnt vmcnt(8) lgkmcnt(4)                              // 000000007D00: BF8C0478
	s_barrier                                                  // 000000007D04: BF8A0000
	v_mfma_f32_16x16x16_f16 v[128:131], v[48:49], a[48:49], 0  // 000000007D08: D3CD0080 12026130
	v_mul_f32_e32 v124, s48, v124                              // 000000007D10: 0AF8F830
	s_nop 0                                                    // 000000007D14: BF800000
	v_mfma_f32_16x16x16_f16 v[128:131], v[50:51], a[52:53], v[128:131]// 000000007D18: D3CD0080 16026932
	ds_read_b128 a[144:147], v10                               // 000000007D20: DBFE0000 9000000A
	v_mov_b32_e32 v32, 0                                       // 000000007D28: 7E400280
	s_mov_b64 exec, s[80:81]                                   // 000000007D2C: BEFE0150
	buffer_load_dword v32, v1, s[8:11], 0 idxen                // 000000007D30: E0502000 80022001
	s_mov_b32 exec_lo, -1                                      // 000000007D38: BEFE00C1
	s_mov_b32 exec_hi, -1                                      // 000000007D3C: BEFF00C1
	v_mfma_f32_16x16x16_f16 v[128:131], v[52:53], a[56:57], v[128:131]// 000000007D40: D3CD0080 16027134
	v_mfma_f32_16x16x16_f16 v[128:131], v[54:55], a[60:61], v[128:131]// 000000007D48: D3CD0080 16027936
	ds_read_b128 a[148:151], v10 offset:512                    // 000000007D50: DBFE0200 9400000A
	v_mov_b32_e32 v33, 0                                       // 000000007D58: 7E420280
	s_mov_b64 exec, s[80:81]                                   // 000000007D5C: BEFE0150
	buffer_load_dword v33, v2, s[8:11], 0 idxen                // 000000007D60: E0502000 80022102
	s_mov_b32 exec_lo, -1                                      // 000000007D68: BEFE00C1
	s_mov_b32 exec_hi, -1                                      // 000000007D6C: BEFF00C1
	v_mfma_f32_16x16x16_f16 v[128:131], v[56:57], a[64:65], v[128:131]// 000000007D70: D3CD0080 16028138
	v_perm_b32 v84, v37, v36, s63                              // 000000007D78: D1ED0054 00FE4925
	v_perm_b32 v85, v37, v36, s64                              // 000000007D80: D1ED0055 01024925
	v_mfma_f32_16x16x16_f16 v[128:131], v[58:59], a[68:69], v[128:131]// 000000007D88: D3CD0080 1602893A
	ds_read_b128 a[152:155], v10 offset:2176                   // 000000007D90: DBFE0880 9800000A
	v_mov_b32_e32 v34, 0                                       // 000000007D98: 7E440280
	s_mov_b64 exec, s[80:81]                                   // 000000007D9C: BEFE0150
	buffer_load_dword v34, v3, s[8:11], 0 idxen                // 000000007DA0: E0502000 80022203
	s_mov_b32 exec_lo, -1                                      // 000000007DA8: BEFE00C1
	s_mov_b32 exec_hi, -1                                      // 000000007DAC: BEFF00C1
	v_mfma_f32_16x16x16_f16 v[128:131], v[60:61], a[72:73], v[128:131]// 000000007DB0: D3CD0080 1602913C
	v_perm_b32 v86, v39, v38, s63                              // 000000007DB8: D1ED0056 00FE4D27
	v_perm_b32 v87, v39, v38, s64                              // 000000007DC0: D1ED0057 01024D27
	v_mfma_f32_16x16x16_f16 v[128:131], v[62:63], a[76:77], v[128:131]// 000000007DC8: D3CD0080 1602993E
	ds_read_b128 a[156:159], v10 offset:2688                   // 000000007DD0: DBFE0A80 9C00000A
	v_mov_b32_e32 v35, 0                                       // 000000007DD8: 7E460280
	s_mov_b64 exec, s[80:81]                                   // 000000007DDC: BEFE0150
	buffer_load_dword v35, v4, s[8:11], 0 idxen                // 000000007DE0: E0502000 80022304
	s_mov_b32 exec_lo, -1                                      // 000000007DE8: BEFE00C1
	s_mov_b32 exec_hi, -1                                      // 000000007DEC: BEFF00C1
	v_mfma_f32_16x16x16_f16 v[128:131], v[64:65], a[80:81], v[128:131]// 000000007DF0: D3CD0080 1602A140
	v_perm_b32 v88, v45, v44, s63                              // 000000007DF8: D1ED0058 00FE592D
	v_perm_b32 v89, v45, v44, s64                              // 000000007E00: D1ED0059 0102592D
	v_mfma_f32_16x16x16_f16 v[128:131], v[66:67], a[84:85], v[128:131]// 000000007E08: D3CD0080 1602A942
	ds_read_b128 v[92:95], v10 offset:8704                     // 000000007E10: D9FE2200 5C00000A
	v_mov_b32_e32 v40, 0                                       // 000000007E18: 7E500280
	s_mov_b64 exec, s[80:81]                                   // 000000007E1C: BEFE0150
	buffer_load_dword v40, v248, s[20:23], 0 idxen             // 000000007E20: E0502000 800528F8
	s_mov_b32 exec_lo, -1                                      // 000000007E28: BEFE00C1
	s_mov_b32 exec_hi, -1                                      // 000000007E2C: BEFF00C1
	v_mfma_f32_16x16x16_f16 v[128:131], v[68:69], a[88:89], v[128:131]// 000000007E30: D3CD0080 1602B144
	v_perm_b32 v90, v47, v46, s63                              // 000000007E38: D1ED005A 00FE5D2F
	v_perm_b32 v91, v47, v46, s64                              // 000000007E40: D1ED005B 01025D2F
	v_mfma_f32_16x16x16_f16 v[128:131], v[70:71], a[92:93], v[128:131]// 000000007E48: D3CD0080 1602B946
	ds_read_b128 v[96:99], v10 offset:9216                     // 000000007E50: D9FE2400 6000000A
	v_mov_b32_e32 v41, 0                                       // 000000007E58: 7E520280
	s_mov_b64 exec, s[80:81]                                   // 000000007E5C: BEFE0150
	buffer_load_dword v41, v249, s[20:23], 0 idxen             // 000000007E60: E0502000 800529F9
	s_mov_b32 exec_lo, -1                                      // 000000007E68: BEFE00C1
	s_mov_b32 exec_hi, -1                                      // 000000007E6C: BEFF00C1
	v_mfma_f32_16x16x16_f16 v[132:135], v[48:49], a[50:51], 0  // 000000007E70: D3CD0084 12026530
	v_mov_b32_dpp v127, v124 quad_perm:[3,3,3,3] row_mask:0xf bank_mask:0xf// 000000007E78: 7EFE02FA FF00FF7C
	v_mov_b32_dpp v126, v124 quad_perm:[2,2,2,2] row_mask:0xf bank_mask:0xf// 000000007E80: 7EFC02FA FF00AA7C
	v_mfma_f32_16x16x16_f16 v[132:135], v[50:51], a[54:55], v[132:135]// 000000007E88: D3CD0084 16126D32
	ds_read_b128 v[100:103], v10 offset:10880                  // 000000007E90: D9FE2A80 6400000A
	v_mov_b32_e32 v42, 0                                       // 000000007E98: 7E540280
	s_mov_b64 exec, s[80:81]                                   // 000000007E9C: BEFE0150
	buffer_load_dword v42, v250, s[20:23], 0 idxen             // 000000007EA0: E0502000 80052AFA
	s_mov_b32 exec_lo, -1                                      // 000000007EA8: BEFE00C1
	s_mov_b32 exec_hi, -1                                      // 000000007EAC: BEFF00C1
	v_mfma_f32_16x16x16_f16 v[132:135], v[52:53], a[58:59], v[132:135]// 000000007EB0: D3CD0084 16127534
	v_mov_b32_dpp v125, v124 quad_perm:[1,1,1,1] row_mask:0xf bank_mask:0xf// 000000007EB8: 7EFA02FA FF00557C
	v_mov_b32_dpp v124, v124 quad_perm:[0,0,0,0] row_mask:0xf bank_mask:0xf// 000000007EC0: 7EF802FA FF00007C
	s_add_u32 s60, 64, s59                                     // 000000007EC8: 803C3BC0
	v_mfma_f32_16x16x16_f16 v[132:135], v[54:55], a[62:63], v[132:135]// 000000007ECC: D3CD0084 16127D36
	ds_read_b128 v[104:107], v10 offset:11392                  // 000000007ED4: D9FE2C80 6800000A
	v_mov_b32_e32 v43, 0                                       // 000000007EDC: 7E560280
	s_mov_b64 exec, s[80:81]                                   // 000000007EE0: BEFE0150
	buffer_load_dword v43, v251, s[20:23], 0 idxen             // 000000007EE4: E0502000 80052BFB
	s_mov_b32 exec_lo, -1                                      // 000000007EEC: BEFE00C1
	s_mov_b32 exec_hi, -1                                      // 000000007EF0: BEFF00C1
	v_mfma_f32_16x16x16_f16 v[132:135], v[56:57], a[66:67], v[132:135]// 000000007EF4: D3CD0084 16128538
	s_cmp_lt_u32 s60, s58                                      // 000000007EFC: BF0A3A3C
	s_cselect_b32 s68, s68, 0                                  // 000000007F00: 85448044
	s_cselect_b32 s100, s100, 0                                // 000000007F04: 85648064
	s_cselect_b32 s69, s69, 0                                  // 000000007F08: 85458045
	v_mfma_f32_16x16x16_f16 v[132:135], v[58:59], a[70:71], v[132:135]// 000000007F0C: D3CD0084 16128D3A
	buffer_load_dword v9, s[24:27], 0 idxen lds                // 000000007F14: E0512000 80060009
	v_mfma_f32_16x16x16_f16 v[132:135], v[60:61], a[74:75], v[132:135]// 000000007F1C: D3CD0084 1612953C
	v_add_u32_e32 v1, s68, v1                                  // 000000007F24: 68020244
	v_add_u32_e32 v2, s68, v2                                  // 000000007F28: 68040444
	v_add_u32_e32 v3, s68, v3                                  // 000000007F2C: 68060644
	v_add_u32_e32 v4, s68, v4                                  // 000000007F30: 68080844
	v_mfma_f32_16x16x16_f16 v[132:135], v[62:63], a[78:79], v[132:135]// 000000007F34: D3CD0084 16129D3E
	v_add_u32_e32 v248, s100, v248                             // 000000007F3C: 69F1F064
	v_add_u32_e32 v249, s100, v249                             // 000000007F40: 69F3F264
	v_add_u32_e32 v250, s100, v250                             // 000000007F44: 69F5F464
	v_add_u32_e32 v251, s100, v251                             // 000000007F48: 69F7F664
	v_mfma_f32_16x16x16_f16 v[132:135], v[64:65], a[82:83], v[132:135]// 000000007F4C: D3CD0084 1612A540
	s_mov_b32 m0, s79                                          // 000000007F54: BEFC004F
	v_add_u32_e32 v9, s69, v9                                  // 000000007F58: 68121245
	v_mfma_f32_16x16x16_f16 v[132:135], v[66:67], a[86:87], v[132:135]// 000000007F5C: D3CD0084 1612AD42
	s_cmp_ge_u32 s59, s73                                      // 000000007F64: BF09493B
	s_cselect_b32 s66, s67, s66                                // 000000007F68: 85424243
	v_mfma_f32_16x16x16_f16 v[132:135], v[68:69], a[90:91], v[132:135]// 000000007F6C: D3CD0084 1612B544
	s_addk_i32 s59, 0x10                                       // 000000007F74: B73B0010
	s_nop 0                                                    // 000000007F78: BF800000
	s_cmp_lt_i32 s59, s58                                      // 000000007F7C: BF043A3B
	v_mfma_f32_16x16x16_f16 v[132:135], v[70:71], a[94:95], v[132:135]// 000000007F80: D3CD0084 1612BD46
	s_cbranch_scc0 label_106E                                  // 000000007F88: BF840001
	s_branch label_0A85                                        // 000000007F8C: BF82FA21

0000000000007f90 <label_106E>:
	s_nop 0                                                    // 000000007F90: BF800000
	s_nop 0                                                    // 000000007F94: BF800000
	s_nop 0                                                    // 000000007F98: BF800000
	s_nop 0                                                    // 000000007F9C: BF800000
	s_nop 0                                                    // 000000007FA0: BF800000
	s_nop 0                                                    // 000000007FA4: BF800000
	s_branch label_165E                                        // 000000007FA8: BF8205DF

0000000000007fac <label_1075>:
	s_waitcnt lgkmcnt(0)                                       // 000000007FAC: BF8CC07F
	s_barrier                                                  // 000000007FB0: BF8A0000
	v_mfma_f32_16x16x16_f16 v[48:51], a[144:145], a[0:1], 0    // 000000007FB4: D3CD0030 1A020190
	v_mul_f32_e32 v128, s47, v128                              // 000000007FBC: 0B01002F
	v_mul_f32_e32 v129, s47, v129                              // 000000007FC0: 0B03022F
	v_mfma_f32_16x16x16_f16 v[48:51], a[146:147], a[2:3], v[48:51]// 000000007FC4: D3CD0030 1CC20592
	ds_write_b32 v11, v44 offset:8704                          // 000000007FCC: D81A2200 00002C0B
	ds_write_b32 v11, v45 offset:9760                          // 000000007FD4: D81A2620 00002D0B
	v_mfma_f32_16x16x16_f16 v[48:51], a[148:149], a[4:5], v[48:51]// 000000007FDC: D3CD0030 1CC20994
	v_mul_f32_e32 v130, s47, v130                              // 000000007FE4: 0B05042F
	v_mul_f32_e32 v131, s47, v131                              // 000000007FE8: 0B07062F
	v_mfma_f32_16x16x16_f16 v[48:51], a[150:151], a[6:7], v[48:51]// 000000007FEC: D3CD0030 1CC20D96
	ds_write_b32 v11, v46 offset:8832                          // 000000007FF4: D81A2280 00002E0B
	ds_write_b32 v11, v47 offset:9888                          // 000000007FFC: D81A26A0 00002F0B
	v_mfma_f32_16x16x16_f16 v[48:51], a[152:153], a[8:9], v[48:51]// 000000008004: D3CD0030 1CC21198
	v_mul_f32_e32 v132, s47, v132                              // 00000000800C: 0B09082F
	v_mul_f32_e32 v133, s47, v133                              // 000000008010: 0B0B0A2F
	v_mfma_f32_16x16x16_f16 v[48:51], a[154:155], a[10:11], v[48:51]// 000000008014: D3CD0030 1CC2159A
	ds_write_b64 v20, v[128:129] offset:24320                  // 00000000801C: D89A5F00 00008014
	v_mfma_f32_16x16x16_f16 v[48:51], a[156:157], a[12:13], v[48:51]// 000000008024: D3CD0030 1CC2199C
	v_mul_f32_e32 v134, s47, v134                              // 00000000802C: 0B0D0C2F
	v_mul_f32_e32 v135, s47, v135                              // 000000008030: 0B0F0E2F
	v_mfma_f32_16x16x16_f16 v[48:51], a[158:159], a[14:15], v[48:51]// 000000008034: D3CD0030 1CC21D9E
	ds_write_b64 v20, v[130:131] offset:24832                  // 00000000803C: D89A6100 00008214
	v_mfma_f32_16x16x16_f16 v[52:55], a[144:145], a[16:17], 0  // 000000008044: D3CD0034 1A022190
	buffer_atomic_add_f32 v140, v7, s[32:35], 0 offen offset:256// 00000000804C: E1341100 80088C07
	v_mfma_f32_16x16x16_f16 v[52:55], a[146:147], a[18:19], v[52:55]// 000000008054: D3CD0034 1CD22592
	ds_write_b64 v20, v[132:133] offset:25344                  // 00000000805C: D89A6300 00008414
	v_mfma_f32_16x16x16_f16 v[52:55], a[148:149], a[20:21], v[52:55]// 000000008064: D3CD0034 1CD22994
	v_mfma_f32_16x16x16_f16 v[52:55], a[150:151], a[22:23], v[52:55]// 00000000806C: D3CD0034 1CD22D96
	ds_write_b64 v20, v[134:135] offset:25856                  // 000000008074: D89A6500 00008614
	v_mfma_f32_16x16x16_f16 v[52:55], a[152:153], a[24:25], v[52:55]// 00000000807C: D3CD0034 1CD23198
	buffer_atomic_add_f32 v141, v8, s[32:35], 0 offen offset:256// 000000008084: E1341100 80088D08
	v_mfma_f32_16x16x16_f16 v[52:55], a[154:155], a[26:27], v[52:55]// 00000000808C: D3CD0034 1CD2359A
	ds_read_b128 v[108:111], v12 offset:13056                  // 000000008094: D9FE3300 6C00000C
	ds_write_b32 v11, v36                                      // 00000000809C: D81A0000 0000240B
	v_mfma_f32_16x16x16_f16 v[52:55], a[156:157], a[28:29], v[52:55]// 0000000080A4: D3CD0034 1CD2399C
	v_mfma_f32_16x16x16_f16 v[52:55], a[158:159], a[30:31], v[52:55]// 0000000080AC: D3CD0034 1CD23D9E
	v_mfma_f32_16x16x16_f16 v[56:59], a[144:145], a[32:33], 0  // 0000000080B4: D3CD0038 1A024190
	ds_read_b128 v[112:115], v12 offset:13568                  // 0000000080BC: D9FE3500 7000000C
	ds_write_b32 v11, v37 offset:1056                          // 0000000080C4: D81A0420 0000250B
	v_mfma_f32_16x16x16_f16 v[56:59], a[146:147], a[34:35], v[56:59]// 0000000080CC: D3CD0038 1CE24592
	buffer_atomic_add_f32 v142, v7, s[32:35], 0 offen offset:384// 0000000080D4: E1341180 80088E07
	v_mfma_f32_16x16x16_f16 v[56:59], a[148:149], a[36:37], v[56:59]// 0000000080DC: D3CD0038 1CE24994
	v_mfma_f32_16x16x16_f16 v[56:59], a[150:151], a[38:39], v[56:59]// 0000000080E4: D3CD0038 1CE24D96
	ds_read_b128 v[116:119], v12 offset:15232                  // 0000000080EC: D9FE3B80 7400000C
	ds_write_b32 v11, v38 offset:128                           // 0000000080F4: D81A0080 0000260B
	v_mfma_f32_16x16x16_f16 v[56:59], a[152:153], a[40:41], v[56:59]// 0000000080FC: D3CD0038 1CE25198
	v_mfma_f32_16x16x16_f16 v[56:59], a[154:155], a[42:43], v[56:59]// 000000008104: D3CD0038 1CE2559A
	buffer_atomic_add_f32 v143, v8, s[32:35], 0 offen offset:384// 00000000810C: E1341180 80088F08
	v_mfma_f32_16x16x16_f16 v[56:59], a[156:157], a[44:45], v[56:59]// 000000008114: D3CD0038 1CE2599C
	ds_read_b128 v[120:123], v12 offset:15744                  // 00000000811C: D9FE3D80 7800000C
	ds_write_b32 v11, v39 offset:1184                          // 000000008124: D81A04A0 0000270B
	v_mfma_f32_16x16x16_f16 v[56:59], a[158:159], a[46:47], v[56:59]// 00000000812C: D3CD0038 1CE25D9E
	s_cmp_eq_i32 s82, 0                                        // 000000008134: BF008052
	s_cbranch_scc1 label_116D                                  // 000000008138: BF85008F
	s_cmp_lt_i32 s74, 12                                       // 00000000813C: BF048C4A
	s_cbranch_scc0 label_1118                                  // 000000008140: BF84003D
	s_lshl_b32 s60, s74, 4                                     // 000000008144: 8E3C844A
	v_sub_i32 v28, v252, s60                                   // 000000008148: D29D001C 000079FC
	s_mov_b32 s61, 0                                           // 000000008150: BEBD0080
	v_add_i32 v29, v28, s61                                    // 000000008154: D29C001D 00007B1C
	v_cmp_gt_i32_e64 s[88:89], v29, 0                          // 00000000815C: D0C40058 0001011D
	v_cmp_gt_i32_e64 s[92:93], v29, 1                          // 000000008164: D0C4005C 0001031D
	v_cndmask_b32_e64 v48, v48, v151, s[88:89]                 // 00000000816C: D1000030 01632F30
	v_cndmask_b32_e64 v49, v49, v151, s[92:93]                 // 000000008174: D1000031 01732F31
	v_cmp_gt_i32_e64 s[88:89], v29, 2                          // 00000000817C: D0C40058 0001051D
	v_cmp_gt_i32_e64 s[92:93], v29, 3                          // 000000008184: D0C4005C 0001071D
	v_cndmask_b32_e64 v50, v50, v151, s[88:89]                 // 00000000818C: D1000032 01632F32
	v_cndmask_b32_e64 v51, v51, v151, s[92:93]                 // 000000008194: D1000033 01732F33
	s_mov_b32 s61, 64                                          // 00000000819C: BEBD00C0
	v_add_i32 v29, v28, s61                                    // 0000000081A0: D29C001D 00007B1C
	v_cmp_gt_i32_e64 s[88:89], v29, 0                          // 0000000081A8: D0C40058 0001011D
	v_cmp_gt_i32_e64 s[92:93], v29, 1                          // 0000000081B0: D0C4005C 0001031D
	v_cndmask_b32_e64 v52, v52, v151, s[88:89]                 // 0000000081B8: D1000034 01632F34
	v_cndmask_b32_e64 v53, v53, v151, s[92:93]                 // 0000000081C0: D1000035 01732F35
	v_cmp_gt_i32_e64 s[88:89], v29, 2                          // 0000000081C8: D0C40058 0001051D
	v_cmp_gt_i32_e64 s[92:93], v29, 3                          // 0000000081D0: D0C4005C 0001071D
	v_cndmask_b32_e64 v54, v54, v151, s[88:89]                 // 0000000081D8: D1000036 01632F36
	v_cndmask_b32_e64 v55, v55, v151, s[92:93]                 // 0000000081E0: D1000037 01732F37
	s_mov_b32 s61, 0x80                                        // 0000000081E8: BEBD00FF 00000080
	v_add_i32 v29, v28, s61                                    // 0000000081F0: D29C001D 00007B1C
	v_cmp_gt_i32_e64 s[88:89], v29, 0                          // 0000000081F8: D0C40058 0001011D
	v_cmp_gt_i32_e64 s[92:93], v29, 1                          // 000000008200: D0C4005C 0001031D
	v_cndmask_b32_e64 v56, v56, v151, s[88:89]                 // 000000008208: D1000038 01632F38
	v_cndmask_b32_e64 v57, v57, v151, s[92:93]                 // 000000008210: D1000039 01732F39
	v_cmp_gt_i32_e64 s[88:89], v29, 2                          // 000000008218: D0C40058 0001051D
	v_cmp_gt_i32_e64 s[92:93], v29, 3                          // 000000008220: D0C4005C 0001071D
	v_cndmask_b32_e64 v58, v58, v151, s[88:89]                 // 000000008228: D100003A 01632F3A
	v_cndmask_b32_e64 v59, v59, v151, s[92:93]                 // 000000008230: D100003B 01732F3B

0000000000008238 <label_1118>:
	s_cmp_lt_i32 s84, 0xc0                                     // 000000008238: BF04FF54 000000C0
	s_cbranch_scc0 label_116D                                  // 000000008240: BF84004D
	s_cmp_le_i32 s84, 64                                       // 000000008244: BF05C054
	s_cbranch_scc1 label_1124                                  // 000000008248: BF850007
	s_cmp_le_i32 s84, 0x80                                     // 00000000824C: BF05FF54 00000080
	s_cbranch_scc1 label_113C                                  // 000000008254: BF850017
	s_cmp_lt_i32 s84, 0xc0                                     // 000000008258: BF04FF54 000000C0
	s_cbranch_scc1 label_1154                                  // 000000008260: BF85002C
	s_branch label_116D                                        // 000000008264: BF820044

0000000000008268 <label_1124>:
	s_mov_b32 s60, 0                                           // 000000008268: BEBC0080
	v_and_b32_e32 v28, 15, v0                                  // 00000000826C: 2638008F
	v_add_u32_e64 v28, v28, s60                                // 000000008270: D134001C 0000791C
	v_mul_i32_i24_e64 v29, s46, 16                             // 000000008278: D106001D 0001202E
	v_add_u32_e32 v28, v28, v29                                // 000000008280: 68383B1C
	v_cmp_lt_u32_e64 s[60:61], v28, s84                        // 000000008284: D0C9003C 0000A91C
	s_nop 1                                                    // 00000000828C: BF800001
	v_cndmask_b32_e64 v48, v151, v48, s[60:61]                 // 000000008290: D1000030 00F26197
	v_cndmask_b32_e64 v49, v151, v49, s[60:61]                 // 000000008298: D1000031 00F26397
	v_cndmask_b32_e64 v50, v151, v50, s[60:61]                 // 0000000082A0: D1000032 00F26597
	v_cndmask_b32_e64 v51, v151, v51, s[60:61]                 // 0000000082A8: D1000033 00F26797
	s_branch label_114F                                        // 0000000082B0: BF820013

00000000000082b4 <label_113C>:
	s_mov_b32 s60, 64                                          // 0000000082B4: BEBC00C0
	v_and_b32_e32 v28, 15, v0                                  // 0000000082B8: 2638008F
	v_add_u32_e64 v28, v28, s60                                // 0000000082BC: D134001C 0000791C
	v_mul_i32_i24_e64 v29, s46, 16                             // 0000000082C4: D106001D 0001202E
	v_add_u32_e32 v28, v28, v29                                // 0000000082CC: 68383B1C
	v_cmp_lt_u32_e64 s[60:61], v28, s84                        // 0000000082D0: D0C9003C 0000A91C
	s_nop 1                                                    // 0000000082D8: BF800001
	v_cndmask_b32_e64 v52, v151, v52, s[60:61]                 // 0000000082DC: D1000034 00F26997
	v_cndmask_b32_e64 v53, v151, v53, s[60:61]                 // 0000000082E4: D1000035 00F26B97
	v_cndmask_b32_e64 v54, v151, v54, s[60:61]                 // 0000000082EC: D1000036 00F26D97
	v_cndmask_b32_e64 v55, v151, v55, s[60:61]                 // 0000000082F4: D1000037 00F26F97
	s_branch label_1168                                        // 0000000082FC: BF820019

0000000000008300 <label_114F>:
	v_mov_b32_e32 v52, v151                                    // 000000008300: 7E680397
	v_mov_b32_e32 v53, v151                                    // 000000008304: 7E6A0397
	v_mov_b32_e32 v54, v151                                    // 000000008308: 7E6C0397
	v_mov_b32_e32 v55, v151                                    // 00000000830C: 7E6E0397
	s_branch label_1168                                        // 000000008310: BF820014

0000000000008314 <label_1154>:
	s_mov_b32 s60, 0x80                                        // 000000008314: BEBC00FF 00000080
	v_and_b32_e32 v28, 15, v0                                  // 00000000831C: 2638008F
	v_add_u32_e64 v28, v28, s60                                // 000000008320: D134001C 0000791C
	v_mul_i32_i24_e64 v29, s46, 16                             // 000000008328: D106001D 0001202E
	v_add_u32_e32 v28, v28, v29                                // 000000008330: 68383B1C
	v_cmp_lt_u32_e64 s[60:61], v28, s84                        // 000000008334: D0C9003C 0000A91C
	s_nop 1                                                    // 00000000833C: BF800001
	v_cndmask_b32_e64 v56, v151, v56, s[60:61]                 // 000000008340: D1000038 00F27197
	v_cndmask_b32_e64 v57, v151, v57, s[60:61]                 // 000000008348: D1000039 00F27397
	v_cndmask_b32_e64 v58, v151, v58, s[60:61]                 // 000000008350: D100003A 00F27597
	v_cndmask_b32_e64 v59, v151, v59, s[60:61]                 // 000000008358: D100003B 00F27797
	s_branch label_116D                                        // 000000008360: BF820005

0000000000008364 <label_1168>:
	v_mov_b32_e32 v56, v151                                    // 000000008364: 7E700397
	v_mov_b32_e32 v57, v151                                    // 000000008368: 7E720397
	v_mov_b32_e32 v58, v151                                    // 00000000836C: 7E740397
	v_mov_b32_e32 v59, v151                                    // 000000008370: 7E760397
	s_branch label_116D                                        // 000000008374: BF820000

0000000000008378 <label_116D>:
	s_addk_i32 s74, 0x1                                        // 000000008378: B74A0001
	s_waitcnt lgkmcnt(8)                                       // 00000000837C: BF8CC87F
	s_barrier                                                  // 000000008380: BF8A0000
	v_mfma_f32_16x16x16_f16 v[72:75], v[92:93], a[96:97], 0    // 000000008384: D3CD0048 1202C15C
	v_fma_f32 v48, v48, s57, -v124                             // 00000000838C: D1CB0030 85F07330
	v_fma_f32 v49, v49, s57, -v125                             // 000000008394: D1CB0031 85F47331
	v_fma_f32 v50, v50, s57, -v126                             // 00000000839C: D1CB0032 85F87332
	v_mfma_f32_16x16x16_f16 v[72:75], v[94:95], a[98:99], v[72:75]// 0000000083A4: D3CD0048 1522C55E
	ds_read_b128 a[144:147], v12 offset:4352                   // 0000000083AC: DBFE1100 9000000C
	ds_read_b128 a[148:151], v12 offset:4864                   // 0000000083B4: DBFE1300 9400000C
	v_mfma_f32_16x16x16_f16 v[72:75], v[96:97], a[100:101], v[72:75]// 0000000083BC: D3CD0048 1522C960
	v_fma_f32 v51, v51, s57, -v127                             // 0000000083C4: D1CB0033 85FC7333
	v_fma_f32 v52, v52, s57, -v124                             // 0000000083CC: D1CB0034 85F07334
	v_fma_f32 v53, v53, s57, -v125                             // 0000000083D4: D1CB0035 85F47335
	v_mfma_f32_16x16x16_f16 v[72:75], v[98:99], a[102:103], v[72:75]// 0000000083DC: D3CD0048 1522CD62
	v_fma_f32 v54, v54, s57, -v126                             // 0000000083E4: D1CB0036 85F87336
	v_fma_f32 v55, v55, s57, -v127                             // 0000000083EC: D1CB0037 85FC7337
	v_fma_f32 v56, v56, s57, -v124                             // 0000000083F4: D1CB0038 85F07338
	v_mfma_f32_16x16x16_f16 v[72:75], v[100:101], a[104:105], v[72:75]// 0000000083FC: D3CD0048 1522D164
	v_fma_f32 v57, v57, s57, -v125                             // 000000008404: D1CB0039 85F47339
	v_fma_f32 v58, v58, s57, -v126                             // 00000000840C: D1CB003A 85F8733A
	v_fma_f32 v59, v59, s57, -v127                             // 000000008414: D1CB003B 85FC733B
	v_mfma_f32_16x16x16_f16 v[72:75], v[102:103], a[106:107], v[72:75]// 00000000841C: D3CD0048 1522D566
	ds_read_b128 a[152:155], v12 offset:6528                   // 000000008424: DBFE1980 9800000C
	ds_read_b128 a[156:159], v12 offset:7040                   // 00000000842C: DBFE1B80 9C00000C
	v_mfma_f32_16x16x16_f16 v[72:75], v[104:105], a[108:109], v[72:75]// 000000008434: D3CD0048 1522D968
	v_exp_f32_e32 v48, v48                                     // 00000000843C: 7E604130
	v_mfma_f32_16x16x16_f16 v[72:75], v[106:107], a[110:111], v[72:75]// 000000008440: D3CD0048 1522DD6A
	v_exp_f32_e32 v49, v49                                     // 000000008448: 7E624131
	v_mfma_f32_16x16x16_f16 v[76:79], v[92:93], a[112:113], 0  // 00000000844C: D3CD004C 1202E15C
	v_exp_f32_e32 v50, v50                                     // 000000008454: 7E644132
	v_mfma_f32_16x16x16_f16 v[76:79], v[94:95], a[114:115], v[76:79]// 000000008458: D3CD004C 1532E55E
	ds_read_b64 v[136:137], v19 offset:24320                   // 000000008460: D8EC5F00 88000013
	ds_read_b64 v[138:139], v19 offset:26368                   // 000000008468: D8EC6700 8A000013
	v_mfma_f32_16x16x16_f16 v[76:79], v[96:97], a[116:117], v[76:79]// 000000008470: D3CD004C 1532E960
	v_exp_f32_e32 v51, v51                                     // 000000008478: 7E664133
	v_mfma_f32_16x16x16_f16 v[76:79], v[98:99], a[118:119], v[76:79]// 00000000847C: D3CD004C 1532ED62
	ds_read_b64 v[140:141], v19 offset:28416                   // 000000008484: D8EC6F00 8C000013
	ds_read_b64 v[142:143], v19 offset:30464                   // 00000000848C: D8EC7700 8E000013
	v_mfma_f32_16x16x16_f16 v[76:79], v[100:101], a[120:121], v[76:79]// 000000008494: D3CD004C 1532F164
	v_exp_f32_e32 v52, v52                                     // 00000000849C: 7E684134
	v_mfma_f32_16x16x16_f16 v[76:79], v[102:103], a[122:123], v[76:79]// 0000000084A0: D3CD004C 1532F566
	v_exp_f32_e32 v53, v53                                     // 0000000084A8: 7E6A4135
	v_mfma_f32_16x16x16_f16 v[76:79], v[104:105], a[124:125], v[76:79]// 0000000084AC: D3CD004C 1532F968
	v_exp_f32_e32 v54, v54                                     // 0000000084B4: 7E6C4136
	v_mfma_f32_16x16x16_f16 v[76:79], v[106:107], a[126:127], v[76:79]// 0000000084B8: D3CD004C 1532FD6A
	v_exp_f32_e32 v55, v55                                     // 0000000084C0: 7E6E4137
	v_mfma_f32_16x16x16_f16 v[80:83], v[92:93], a[128:129], 0  // 0000000084C4: D3CD0050 1203015C
	v_exp_f32_e32 v56, v56                                     // 0000000084CC: 7E704138
	v_mfma_f32_16x16x16_f16 v[80:83], v[94:95], a[130:131], v[80:83]// 0000000084D0: D3CD0050 1543055E
	v_exp_f32_e32 v57, v57                                     // 0000000084D8: 7E724139
	v_mfma_f32_16x16x16_f16 v[80:83], v[96:97], a[132:133], v[80:83]// 0000000084DC: D3CD0050 15430960
	v_exp_f32_e32 v58, v58                                     // 0000000084E4: 7E74413A
	v_mfma_f32_16x16x16_f16 v[80:83], v[98:99], a[134:135], v[80:83]// 0000000084E8: D3CD0050 15430D62
	v_exp_f32_e32 v59, v59                                     // 0000000084F0: 7E76413B
	v_mfma_f32_16x16x16_f16 v[80:83], v[100:101], a[136:137], v[80:83]// 0000000084F4: D3CD0050 15431164
	v_cvt_pkrtz_f16_f32 v144, v48, v49                         // 0000000084FC: D2960090 00026330
	v_cvt_pkrtz_f16_f32 v145, v50, v51                         // 000000008504: D2960091 00026732
	v_cvt_pkrtz_f16_f32 v146, v52, v53                         // 00000000850C: D2960092 00026B34
	v_mfma_f32_16x16x16_f16 v[80:83], v[102:103], a[138:139], v[80:83]// 000000008514: D3CD0050 15431566
	v_cvt_pkrtz_f16_f32 v147, v54, v55                         // 00000000851C: D2960093 00026F36
	v_cvt_pkrtz_f16_f32 v148, v56, v57                         // 000000008524: D2960094 00027338
	v_cvt_pkrtz_f16_f32 v149, v58, v59                         // 00000000852C: D2960095 0002773A
	v_mfma_f32_16x16x16_f16 v[80:83], v[104:105], a[140:141], v[80:83]// 000000008534: D3CD0050 15431968
	v_add_u32_e32 v7, s66, v7                                  // 00000000853C: 680E0E42
	v_add_u32_e32 v8, s66, v8                                  // 000000008540: 68101042
	v_mfma_f32_16x16x16_f16 v[80:83], v[106:107], a[142:143], v[80:83]// 000000008544: D3CD0050 15431D6A
	s_waitcnt lgkmcnt(0)                                       // 00000000854C: BF8CC07F
	s_barrier                                                  // 000000008550: BF8A0000
	v_mfma_f32_16x16x16_f16 v[152:155], v[108:109], v[144:145], v[152:155]// 000000008554: D3CD0098 0663216C
	v_subrev_f32_dpp v72, v150, v72 quad_perm:[0,0,0,0] row_mask:0xf bank_mask:0xf// 00000000855C: 069090FA FF000096
	v_subrev_f32_dpp v73, v150, v73 quad_perm:[1,1,1,1] row_mask:0xf bank_mask:0xf// 000000008564: 069292FA FF005596
	v_subrev_f32_dpp v74, v150, v74 quad_perm:[2,2,2,2] row_mask:0xf bank_mask:0xf// 00000000856C: 069494FA FF00AA96
	v_mfma_f32_16x16x16_f16 v[156:159], v[110:111], v[144:145], v[156:159]// 000000008574: D3CD009C 0673216E
	v_subrev_f32_dpp v75, v150, v75 quad_perm:[3,3,3,3] row_mask:0xf bank_mask:0xf// 00000000857C: 069696FA FF00FF96
	v_subrev_f32_dpp v76, v150, v76 quad_perm:[0,0,0,0] row_mask:0xf bank_mask:0xf// 000000008584: 069898FA FF000096
	v_subrev_f32_dpp v77, v150, v77 quad_perm:[1,1,1,1] row_mask:0xf bank_mask:0xf// 00000000858C: 069A9AFA FF005596
	v_mfma_f32_16x16x16_f16 v[160:163], v[112:113], v[144:145], v[160:163]// 000000008594: D3CD00A0 06832170
	v_mul_f32_e32 v72, v48, v72                                // 00000000859C: 0A909130
	v_mul_f32_e32 v73, v49, v73                                // 0000000085A0: 0A929331
	v_mul_f32_e32 v74, v50, v74                                // 0000000085A4: 0A949532
	v_mfma_f32_16x16x16_f16 v[164:167], v[114:115], v[144:145], v[164:167]// 0000000085A8: D3CD00A4 06932172
	v_mul_f32_e32 v75, v51, v75                                // 0000000085B0: 0A969733
	v_mul_f32_e32 v76, v52, v76                                // 0000000085B4: 0A989934
	v_mul_f32_e32 v77, v53, v77                                // 0000000085B8: 0A9A9B35
	v_mfma_f32_16x16x16_f16 v[168:171], v[116:117], v[144:145], v[168:171]// 0000000085BC: D3CD00A8 06A32174
	v_cvt_pkrtz_f16_f32 v72, v72, v73                          // 0000000085C4: D2960048 00029348
	v_cvt_pkrtz_f16_f32 v73, v74, v75                          // 0000000085CC: D2960049 0002974A
	v_cvt_pkrtz_f16_f32 v74, v76, v77                          // 0000000085D4: D296004A 00029B4C
	v_mfma_f32_16x16x16_f16 v[172:175], v[118:119], v[144:145], v[172:175]// 0000000085DC: D3CD00AC 06B32176
	v_mov_b32_dpp v16, v72 quad_perm:[1,0,3,2] row_mask:0xf bank_mask:0xf// 0000000085E4: 7E2002FA FF00B148
	v_perm_b32 v48, v16, v72, v15                              // 0000000085EC: D1ED0030 043E9110
	v_mov_b32_dpp v16, v73 quad_perm:[1,0,3,2] row_mask:0xf bank_mask:0xf// 0000000085F4: 7E2002FA FF00B149
	v_mfma_f32_16x16x16_f16 v[176:179], v[120:121], v[144:145], v[176:179]// 0000000085FC: D3CD00B0 06C32178
	ds_write_b32 v18, v48 offset:17408                         // 000000008604: D81A4400 00003012
	v_mfma_f32_16x16x16_f16 v[180:183], v[122:123], v[144:145], v[180:183]// 00000000860C: D3CD00B4 06D3217A
	v_perm_b32 v49, v16, v73, v15                              // 000000008614: D1ED0031 043E9310
	v_mov_b32_dpp v16, v74 quad_perm:[1,0,3,2] row_mask:0xf bank_mask:0xf// 00000000861C: 7E2002FA FF00B14A
	v_perm_b32 v50, v16, v74, v15                              // 000000008624: D1ED0032 043E9510
	v_mfma_f32_16x16x16_f16 v[184:187], v[108:109], v[146:147], v[184:187]// 00000000862C: D3CD00B8 06E3256C
	ds_write_b32 v18, v49 offset:17952                         // 000000008634: D81A4620 00003112
	v_mfma_f32_16x16x16_f16 v[188:191], v[110:111], v[146:147], v[188:191]// 00000000863C: D3CD00BC 06F3256E
	v_subrev_f32_dpp v78, v150, v78 quad_perm:[2,2,2,2] row_mask:0xf bank_mask:0xf// 000000008644: 069C9CFA FF00AA96
	v_subrev_f32_dpp v79, v150, v79 quad_perm:[3,3,3,3] row_mask:0xf bank_mask:0xf// 00000000864C: 069E9EFA FF00FF96
	v_subrev_f32_dpp v80, v150, v80 quad_perm:[0,0,0,0] row_mask:0xf bank_mask:0xf// 000000008654: 06A0A0FA FF000096
	v_mfma_f32_16x16x16_f16 v[192:195], v[112:113], v[146:147], v[192:195]// 00000000865C: D3CD00C0 07032570
	ds_write_b32 v18, v50 offset:19712                         // 000000008664: D81A4D00 00003212
	v_mfma_f32_16x16x16_f16 v[196:199], v[114:115], v[146:147], v[196:199]// 00000000866C: D3CD00C4 07132572
	v_subrev_f32_dpp v81, v150, v81 quad_perm:[1,1,1,1] row_mask:0xf bank_mask:0xf// 000000008674: 06A2A2FA FF005596
	v_subrev_f32_dpp v82, v150, v82 quad_perm:[2,2,2,2] row_mask:0xf bank_mask:0xf// 00000000867C: 06A4A4FA FF00AA96
	v_subrev_f32_dpp v83, v150, v83 quad_perm:[3,3,3,3] row_mask:0xf bank_mask:0xf// 000000008684: 06A6A6FA FF00FF96
	v_mfma_f32_16x16x16_f16 v[200:203], v[116:117], v[146:147], v[200:203]// 00000000868C: D3CD00C8 07232574
	v_mul_f32_e32 v78, v54, v78                                // 000000008694: 0A9C9D36
	v_mul_f32_e32 v79, v55, v79                                // 000000008698: 0A9E9F37
	v_mul_f32_e32 v80, v56, v80                                // 00000000869C: 0AA0A138
	v_mfma_f32_16x16x16_f16 v[204:207], v[118:119], v[146:147], v[204:207]// 0000000086A0: D3CD00CC 07332576
	v_mul_f32_e32 v81, v57, v81                                // 0000000086A8: 0AA2A339
	v_mul_f32_e32 v82, v58, v82                                // 0000000086AC: 0AA4A53A
	v_mul_f32_e32 v83, v59, v83                                // 0000000086B0: 0AA6A73B
	v_mfma_f32_16x16x16_f16 v[208:211], v[120:121], v[146:147], v[208:211]// 0000000086B4: D3CD00D0 07432578
	v_cvt_pkrtz_f16_f32 v75, v78, v79                          // 0000000086BC: D296004B 00029F4E
	v_cvt_pkrtz_f16_f32 v76, v80, v81                          // 0000000086C4: D296004C 0002A350
	v_cvt_pkrtz_f16_f32 v77, v82, v83                          // 0000000086CC: D296004D 0002A752
	v_mfma_f32_16x16x16_f16 v[212:215], v[122:123], v[146:147], v[212:215]// 0000000086D4: D3CD00D4 0753257A
	v_mov_b32_dpp v16, v75 quad_perm:[1,0,3,2] row_mask:0xf bank_mask:0xf// 0000000086DC: 7E2002FA FF00B14B
	v_perm_b32 v51, v16, v75, v15                              // 0000000086E4: D1ED0033 043E9710
	v_mov_b32_dpp v16, v76 quad_perm:[1,0,3,2] row_mask:0xf bank_mask:0xf// 0000000086EC: 7E2002FA FF00B14C
	v_mfma_f32_16x16x16_f16 v[216:219], v[108:109], v[148:149], v[216:219]// 0000000086F4: D3CD00D8 0763296C
	ds_write_b32 v18, v51 offset:20256                         // 0000000086FC: D81A4F20 00003312
	v_mfma_f32_16x16x16_f16 v[220:223], v[110:111], v[148:149], v[220:223]// 000000008704: D3CD00DC 0773296E
	v_perm_b32 v52, v16, v76, v15                              // 00000000870C: D1ED0034 043E9910
	v_mov_b32_dpp v16, v77 quad_perm:[1,0,3,2] row_mask:0xf bank_mask:0xf// 000000008714: 7E2002FA FF00B14D
	v_perm_b32 v53, v16, v77, v15                              // 00000000871C: D1ED0035 043E9B10
	v_mfma_f32_16x16x16_f16 v[224:227], v[112:113], v[148:149], v[224:227]// 000000008724: D3CD00E0 07832970
	ds_write_b32 v18, v52 offset:22016                         // 00000000872C: D81A5600 00003412
	ds_write_b32 v18, v53 offset:22560                         // 000000008734: D81A5820 00003512
	v_mfma_f32_16x16x16_f16 v[228:231], v[114:115], v[148:149], v[228:231]// 00000000873C: D3CD00E4 07932972
	v_mfma_f32_16x16x16_f16 v[232:235], v[116:117], v[148:149], v[232:235]// 000000008744: D3CD00E8 07A32974
	ds_write_b32 v13, v84 offset:4352                          // 00000000874C: D81A1100 0000540D
	ds_write_b32 v13, v85 offset:5408                          // 000000008754: D81A1520 0000550D
	v_mfma_f32_16x16x16_f16 v[236:239], v[118:119], v[148:149], v[236:239]// 00000000875C: D3CD00EC 07B32976
	v_mfma_f32_16x16x16_f16 v[240:243], v[120:121], v[148:149], v[240:243]// 000000008764: D3CD00F0 07C32978
	ds_write_b32 v13, v86 offset:4480                          // 00000000876C: D81A1180 0000560D
	ds_write_b32 v13, v87 offset:5536                          // 000000008774: D81A15A0 0000570D
	v_mfma_f32_16x16x16_f16 v[244:247], v[122:123], v[148:149], v[244:247]// 00000000877C: D3CD00F4 07D3297A
	s_nop 0                                                    // 000000008784: BF800000
	s_nop 0                                                    // 000000008788: BF800000
	s_nop 0                                                    // 00000000878C: BF800000
	s_barrier                                                  // 000000008790: BF8A0000
	v_mfma_f32_16x16x16_f16 a[160:163], a[144:145], v[72:73], a[160:163]// 000000008794: D3CD80A0 0E829190
	ds_read_b32 v124, v21 offset:51200                         // 00000000879C: D86CC800 7C000015
	ds_read_b32 v150, v21 offset:51456                         // 0000000087A4: D86CC900 96000015
	v_mfma_f32_16x16x16_f16 a[164:167], a[146:147], v[72:73], a[164:167]// 0000000087AC: D3CD80A4 0E929192
	buffer_atomic_add_f32 v136, v7, s[32:35], 0 offen          // 0000000087B4: E1341000 80088807
	v_mfma_f32_16x16x16_f16 a[168:171], a[148:149], v[72:73], a[168:171]// 0000000087BC: D3CD80A8 0EA29194
	s_waitcnt lgkmcnt(6)                                       // 0000000087C4: BF8CC67F
	s_barrier                                                  // 0000000087C8: BF8A0000
	v_mfma_f32_16x16x16_f16 a[172:175], a[150:151], v[72:73], a[172:175]// 0000000087CC: D3CD80AC 0EB29196
	v_mfma_f32_16x16x16_f16 a[176:179], a[152:153], v[72:73], a[176:179]// 0000000087D4: D3CD80B0 0EC29198
	ds_read_b128 v[48:51], v17 offset:17408                    // 0000000087DC: D9FE4400 30000011
	v_mfma_f32_16x16x16_f16 a[180:183], a[154:155], v[72:73], a[180:183]// 0000000087E4: D3CD80B4 0ED2919A
	v_mfma_f32_16x16x16_f16 a[184:187], a[156:157], v[72:73], a[184:187]// 0000000087EC: D3CD80B8 0EE2919C
	ds_read_b128 v[52:55], v17 offset:18560                    // 0000000087F4: D9FE4880 34000011
	v_mfma_f32_16x16x16_f16 a[188:191], a[158:159], v[72:73], a[188:191]// 0000000087FC: D3CD80BC 0EF2919E
	buffer_atomic_add_f32 v137, v8, s[32:35], 0 offen          // 000000008804: E1341000 80088908
	v_mfma_f32_16x16x16_f16 a[192:195], a[144:145], v[74:75], a[192:195]// 00000000880C: D3CD80C0 0F029590
	ds_read_b128 v[56:59], v17 offset:19712                    // 000000008814: D9FE4D00 38000011
	v_mfma_f32_16x16x16_f16 a[196:199], a[146:147], v[74:75], a[196:199]// 00000000881C: D3CD80C4 0F129592
	v_mfma_f32_16x16x16_f16 a[200:203], a[148:149], v[74:75], a[200:203]// 000000008824: D3CD80C8 0F229594
	ds_read_b128 v[60:63], v17 offset:20864                    // 00000000882C: D9FE5180 3C000011
	v_mfma_f32_16x16x16_f16 a[204:207], a[150:151], v[74:75], a[204:207]// 000000008834: D3CD80CC 0F329596
	v_mfma_f32_16x16x16_f16 a[208:211], a[152:153], v[74:75], a[208:211]// 00000000883C: D3CD80D0 0F429598
	ds_read_b128 v[64:67], v17 offset:22016                    // 000000008844: D9FE5600 40000011
	v_mfma_f32_16x16x16_f16 a[212:215], a[154:155], v[74:75], a[212:215]// 00000000884C: D3CD80D4 0F52959A
	buffer_atomic_add_f32 v138, v7, s[32:35], 0 offen offset:128// 000000008854: E1341080 80088A07
	v_mfma_f32_16x16x16_f16 a[216:219], a[156:157], v[74:75], a[216:219]// 00000000885C: D3CD80D8 0F62959C
	ds_read_b128 v[68:71], v17 offset:23168                    // 000000008864: D9FE5A80 44000011
	v_mfma_f32_16x16x16_f16 a[220:223], a[158:159], v[74:75], a[220:223]// 00000000886C: D3CD80DC 0F72959E
	v_mfma_f32_16x16x16_f16 a[224:227], a[144:145], v[76:77], a[224:227]// 000000008874: D3CD80E0 0F829990
	ds_write_b32 v13, v88 offset:13056                         // 00000000887C: D81A3300 0000580D
	v_mfma_f32_16x16x16_f16 a[228:231], a[146:147], v[76:77], a[228:231]// 000000008884: D3CD80E4 0F929992
	v_mfma_f32_16x16x16_f16 a[232:235], a[148:149], v[76:77], a[232:235]// 00000000888C: D3CD80E8 0FA29994
	ds_write_b32 v13, v89 offset:14112                         // 000000008894: D81A3720 0000590D
	v_mfma_f32_16x16x16_f16 a[236:239], a[150:151], v[76:77], a[236:239]// 00000000889C: D3CD80EC 0FB29996
	buffer_atomic_add_f32 v139, v8, s[32:35], 0 offen offset:128// 0000000088A4: E1341080 80088B08
	v_mfma_f32_16x16x16_f16 a[240:243], a[152:153], v[76:77], a[240:243]// 0000000088AC: D3CD80F0 0FC29998
	ds_write_b32 v13, v90 offset:13184                         // 0000000088B4: D81A3380 00005A0D
	v_mfma_f32_16x16x16_f16 a[244:247], a[154:155], v[76:77], a[244:247]// 0000000088BC: D3CD80F4 0FD2999A
	v_mfma_f32_16x16x16_f16 a[248:251], a[156:157], v[76:77], a[248:251]// 0000000088C4: D3CD80F8 0FE2999C
	ds_write_b32 v13, v91 offset:14240                         // 0000000088CC: D81A37A0 00005B0D
	v_mfma_f32_16x16x16_f16 a[252:255], a[158:159], v[76:77], a[252:255]// 0000000088D4: D3CD80FC 0FF2999E
	s_waitcnt vmcnt(8) lgkmcnt(4)                              // 0000000088DC: BF8C0478
	s_barrier                                                  // 0000000088E0: BF8A0000
	v_mfma_f32_16x16x16_f16 v[128:131], v[48:49], a[48:49], 0  // 0000000088E4: D3CD0080 12026130
	ds_read_b128 a[144:147], v10                               // 0000000088EC: DBFE0000 9000000A
	v_mov_b32_e32 v36, 0                                       // 0000000088F4: 7E480280
	s_mov_b64 exec, s[80:81]                                   // 0000000088F8: BEFE0150
	buffer_load_dword v36, v1, s[8:11], 0 idxen                // 0000000088FC: E0502000 80022401
	s_mov_b32 exec_lo, -1                                      // 000000008904: BEFE00C1
	s_mov_b32 exec_hi, -1                                      // 000000008908: BEFF00C1
	v_mfma_f32_16x16x16_f16 v[128:131], v[50:51], a[52:53], v[128:131]// 00000000890C: D3CD0080 16026932
	v_mul_f32_e32 v124, s48, v124                              // 000000008914: 0AF8F830
	s_nop 0                                                    // 000000008918: BF800000
	v_mfma_f32_16x16x16_f16 v[128:131], v[52:53], a[56:57], v[128:131]// 00000000891C: D3CD0080 16027134
	ds_read_b128 a[148:151], v10 offset:512                    // 000000008924: DBFE0200 9400000A
	v_mov_b32_e32 v37, 0                                       // 00000000892C: 7E4A0280
	s_mov_b64 exec, s[80:81]                                   // 000000008930: BEFE0150
	buffer_load_dword v37, v2, s[8:11], 0 idxen                // 000000008934: E0502000 80022502
	s_mov_b32 exec_lo, -1                                      // 00000000893C: BEFE00C1
	s_mov_b32 exec_hi, -1                                      // 000000008940: BEFF00C1
	v_mfma_f32_16x16x16_f16 v[128:131], v[54:55], a[60:61], v[128:131]// 000000008944: D3CD0080 16027936
	v_mfma_f32_16x16x16_f16 v[128:131], v[56:57], a[64:65], v[128:131]// 00000000894C: D3CD0080 16028138
	ds_read_b128 a[152:155], v10 offset:2176                   // 000000008954: DBFE0880 9800000A
	v_mov_b32_e32 v38, 0                                       // 00000000895C: 7E4C0280
	s_mov_b64 exec, s[80:81]                                   // 000000008960: BEFE0150
	buffer_load_dword v38, v3, s[8:11], 0 idxen                // 000000008964: E0502000 80022603
	s_mov_b32 exec_lo, -1                                      // 00000000896C: BEFE00C1
	s_mov_b32 exec_hi, -1                                      // 000000008970: BEFF00C1
	v_mfma_f32_16x16x16_f16 v[128:131], v[58:59], a[68:69], v[128:131]// 000000008974: D3CD0080 1602893A
	v_perm_b32 v84, v33, v32, s63                              // 00000000897C: D1ED0054 00FE4121
	v_perm_b32 v85, v33, v32, s64                              // 000000008984: D1ED0055 01024121
	v_mfma_f32_16x16x16_f16 v[128:131], v[60:61], a[72:73], v[128:131]// 00000000898C: D3CD0080 1602913C
	ds_read_b128 a[156:159], v10 offset:2688                   // 000000008994: DBFE0A80 9C00000A
	v_mov_b32_e32 v39, 0                                       // 00000000899C: 7E4E0280
	s_mov_b64 exec, s[80:81]                                   // 0000000089A0: BEFE0150
	buffer_load_dword v39, v4, s[8:11], 0 idxen                // 0000000089A4: E0502000 80022704
	s_mov_b32 exec_lo, -1                                      // 0000000089AC: BEFE00C1
	s_mov_b32 exec_hi, -1                                      // 0000000089B0: BEFF00C1
	v_mfma_f32_16x16x16_f16 v[128:131], v[62:63], a[76:77], v[128:131]// 0000000089B4: D3CD0080 1602993E
	v_perm_b32 v86, v35, v34, s63                              // 0000000089BC: D1ED0056 00FE4523
	v_perm_b32 v87, v35, v34, s64                              // 0000000089C4: D1ED0057 01024523
	v_mfma_f32_16x16x16_f16 v[128:131], v[64:65], a[80:81], v[128:131]// 0000000089CC: D3CD0080 1602A140
	ds_read_b128 v[92:95], v10 offset:8704                     // 0000000089D4: D9FE2200 5C00000A
	v_mov_b32_e32 v44, 0                                       // 0000000089DC: 7E580280
	s_mov_b64 exec, s[80:81]                                   // 0000000089E0: BEFE0150
	buffer_load_dword v44, v248, s[20:23], 0 idxen             // 0000000089E4: E0502000 80052CF8
	s_mov_b32 exec_lo, -1                                      // 0000000089EC: BEFE00C1
	s_mov_b32 exec_hi, -1                                      // 0000000089F0: BEFF00C1
	v_mfma_f32_16x16x16_f16 v[128:131], v[66:67], a[84:85], v[128:131]// 0000000089F4: D3CD0080 1602A942
	v_perm_b32 v88, v41, v40, s63                              // 0000000089FC: D1ED0058 00FE5129
	v_perm_b32 v89, v41, v40, s64                              // 000000008A04: D1ED0059 01025129
	v_mfma_f32_16x16x16_f16 v[128:131], v[68:69], a[88:89], v[128:131]// 000000008A0C: D3CD0080 1602B144
	ds_read_b128 v[96:99], v10 offset:9216                     // 000000008A14: D9FE2400 6000000A
	v_mov_b32_e32 v45, 0                                       // 000000008A1C: 7E5A0280
	s_mov_b64 exec, s[80:81]                                   // 000000008A20: BEFE0150
	buffer_load_dword v45, v249, s[20:23], 0 idxen             // 000000008A24: E0502000 80052DF9
	s_mov_b32 exec_lo, -1                                      // 000000008A2C: BEFE00C1
	s_mov_b32 exec_hi, -1                                      // 000000008A30: BEFF00C1
	v_mfma_f32_16x16x16_f16 v[128:131], v[70:71], a[92:93], v[128:131]// 000000008A34: D3CD0080 1602B946
	v_perm_b32 v90, v43, v42, s63                              // 000000008A3C: D1ED005A 00FE552B
	v_perm_b32 v91, v43, v42, s64                              // 000000008A44: D1ED005B 0102552B
	v_mfma_f32_16x16x16_f16 v[132:135], v[48:49], a[50:51], 0  // 000000008A4C: D3CD0084 12026530
	ds_read_b128 v[100:103], v10 offset:10880                  // 000000008A54: D9FE2A80 6400000A
	v_mov_b32_e32 v46, 0                                       // 000000008A5C: 7E5C0280
	s_mov_b64 exec, s[80:81]                                   // 000000008A60: BEFE0150
	buffer_load_dword v46, v250, s[20:23], 0 idxen             // 000000008A64: E0502000 80052EFA
	s_mov_b32 exec_lo, -1                                      // 000000008A6C: BEFE00C1
	s_mov_b32 exec_hi, -1                                      // 000000008A70: BEFF00C1
	v_mfma_f32_16x16x16_f16 v[132:135], v[50:51], a[54:55], v[132:135]// 000000008A74: D3CD0084 16126D32
	v_mov_b32_dpp v127, v124 quad_perm:[3,3,3,3] row_mask:0xf bank_mask:0xf// 000000008A7C: 7EFE02FA FF00FF7C
	v_mov_b32_dpp v126, v124 quad_perm:[2,2,2,2] row_mask:0xf bank_mask:0xf// 000000008A84: 7EFC02FA FF00AA7C
	v_mfma_f32_16x16x16_f16 v[132:135], v[52:53], a[58:59], v[132:135]// 000000008A8C: D3CD0084 16127534
	ds_read_b128 v[104:107], v10 offset:11392                  // 000000008A94: D9FE2C80 6800000A
	v_mov_b32_e32 v47, 0                                       // 000000008A9C: 7E5E0280
	s_mov_b64 exec, s[80:81]                                   // 000000008AA0: BEFE0150
	buffer_load_dword v47, v251, s[20:23], 0 idxen             // 000000008AA4: E0502000 80052FFB
	s_mov_b32 exec_lo, -1                                      // 000000008AAC: BEFE00C1
	s_mov_b32 exec_hi, -1                                      // 000000008AB0: BEFF00C1
	v_mfma_f32_16x16x16_f16 v[132:135], v[54:55], a[62:63], v[132:135]// 000000008AB4: D3CD0084 16127D36
	v_mov_b32_dpp v125, v124 quad_perm:[1,1,1,1] row_mask:0xf bank_mask:0xf// 000000008ABC: 7EFA02FA FF00557C
	v_mov_b32_dpp v124, v124 quad_perm:[0,0,0,0] row_mask:0xf bank_mask:0xf// 000000008AC4: 7EF802FA FF00007C
	s_add_u32 s60, 64, s59                                     // 000000008ACC: 803C3BC0
	v_mfma_f32_16x16x16_f16 v[132:135], v[56:57], a[66:67], v[132:135]// 000000008AD0: D3CD0084 16128538
	buffer_load_dword v9, s[24:27], 0 idxen lds                // 000000008AD8: E0512000 80060009
	v_mfma_f32_16x16x16_f16 v[132:135], v[58:59], a[70:71], v[132:135]// 000000008AE0: D3CD0084 16128D3A
	s_cmp_lt_u32 s60, s58                                      // 000000008AE8: BF0A3A3C
	s_cselect_b32 s68, s68, 0                                  // 000000008AEC: 85448044
	s_cselect_b32 s100, s100, 0                                // 000000008AF0: 85648064
	s_cselect_b32 s69, s69, 0                                  // 000000008AF4: 85458045
	v_mfma_f32_16x16x16_f16 v[132:135], v[60:61], a[74:75], v[132:135]// 000000008AF8: D3CD0084 1612953C
	v_add_u32_e32 v1, s68, v1                                  // 000000008B00: 68020244
	v_add_u32_e32 v2, s68, v2                                  // 000000008B04: 68040444
	v_add_u32_e32 v3, s68, v3                                  // 000000008B08: 68060644
	v_add_u32_e32 v4, s68, v4                                  // 000000008B0C: 68080844
	v_mfma_f32_16x16x16_f16 v[132:135], v[62:63], a[78:79], v[132:135]// 000000008B10: D3CD0084 16129D3E
	v_add_u32_e32 v248, s100, v248                             // 000000008B18: 69F1F064
	v_add_u32_e32 v249, s100, v249                             // 000000008B1C: 69F3F264
	v_add_u32_e32 v250, s100, v250                             // 000000008B20: 69F5F464
	v_add_u32_e32 v251, s100, v251                             // 000000008B24: 69F7F664
	v_mfma_f32_16x16x16_f16 v[132:135], v[64:65], a[82:83], v[132:135]// 000000008B28: D3CD0084 1612A540
	s_mov_b32 m0, s78                                          // 000000008B30: BEFC004E
	v_add_u32_e32 v9, s69, v9                                  // 000000008B34: 68121245
	v_mfma_f32_16x16x16_f16 v[132:135], v[66:67], a[86:87], v[132:135]// 000000008B38: D3CD0084 1612AD42
	s_cmp_ge_u32 s59, s73                                      // 000000008B40: BF09493B
	s_cselect_b32 s66, s67, s66                                // 000000008B44: 85424243
	v_mfma_f32_16x16x16_f16 v[132:135], v[68:69], a[90:91], v[132:135]// 000000008B48: D3CD0084 1612B544
	s_addk_i32 s59, 0x10                                       // 000000008B50: B73B0010
	s_nop 0                                                    // 000000008B54: BF800000
	s_cmp_lt_i32 s59, s58                                      // 000000008B58: BF043A3B
	v_mfma_f32_16x16x16_f16 v[132:135], v[70:71], a[94:95], v[132:135]// 000000008B5C: D3CD0084 1612BD46
	s_cbranch_scc0 label_106E                                  // 000000008B64: BF84FD0A
	s_waitcnt lgkmcnt(0)                                       // 000000008B68: BF8CC07F
	s_barrier                                                  // 000000008B6C: BF8A0000
	v_mfma_f32_16x16x16_f16 v[48:51], a[144:145], a[0:1], 0    // 000000008B70: D3CD0030 1A020190
	v_mul_f32_e32 v128, s47, v128                              // 000000008B78: 0B01002F
	v_mul_f32_e32 v129, s47, v129                              // 000000008B7C: 0B03022F
	v_mfma_f32_16x16x16_f16 v[48:51], a[146:147], a[2:3], v[48:51]// 000000008B80: D3CD0030 1CC20592
	ds_write_b32 v11, v40 offset:8704                          // 000000008B88: D81A2200 0000280B
	ds_write_b32 v11, v41 offset:9760                          // 000000008B90: D81A2620 0000290B
	v_mfma_f32_16x16x16_f16 v[48:51], a[148:149], a[4:5], v[48:51]// 000000008B98: D3CD0030 1CC20994
	v_mul_f32_e32 v130, s47, v130                              // 000000008BA0: 0B05042F
	v_mul_f32_e32 v131, s47, v131                              // 000000008BA4: 0B07062F
	v_mfma_f32_16x16x16_f16 v[48:51], a[150:151], a[6:7], v[48:51]// 000000008BA8: D3CD0030 1CC20D96
	ds_write_b32 v11, v42 offset:8832                          // 000000008BB0: D81A2280 00002A0B
	ds_write_b32 v11, v43 offset:9888                          // 000000008BB8: D81A26A0 00002B0B
	v_mfma_f32_16x16x16_f16 v[48:51], a[152:153], a[8:9], v[48:51]// 000000008BC0: D3CD0030 1CC21198
	v_mul_f32_e32 v132, s47, v132                              // 000000008BC8: 0B09082F
	v_mul_f32_e32 v133, s47, v133                              // 000000008BCC: 0B0B0A2F
	v_mfma_f32_16x16x16_f16 v[48:51], a[154:155], a[10:11], v[48:51]// 000000008BD0: D3CD0030 1CC2159A
	ds_write_b64 v20, v[128:129] offset:24320                  // 000000008BD8: D89A5F00 00008014
	v_mfma_f32_16x16x16_f16 v[48:51], a[156:157], a[12:13], v[48:51]// 000000008BE0: D3CD0030 1CC2199C
	v_mul_f32_e32 v134, s47, v134                              // 000000008BE8: 0B0D0C2F
	v_mul_f32_e32 v135, s47, v135                              // 000000008BEC: 0B0F0E2F
	v_mfma_f32_16x16x16_f16 v[48:51], a[158:159], a[14:15], v[48:51]// 000000008BF0: D3CD0030 1CC21D9E
	ds_write_b64 v20, v[130:131] offset:24832                  // 000000008BF8: D89A6100 00008214
	v_mfma_f32_16x16x16_f16 v[52:55], a[144:145], a[16:17], 0  // 000000008C00: D3CD0034 1A022190
	buffer_atomic_add_f32 v140, v7, s[32:35], 0 offen offset:256// 000000008C08: E1341100 80088C07
	v_mfma_f32_16x16x16_f16 v[52:55], a[146:147], a[18:19], v[52:55]// 000000008C10: D3CD0034 1CD22592
	ds_write_b64 v20, v[132:133] offset:25344                  // 000000008C18: D89A6300 00008414
	v_mfma_f32_16x16x16_f16 v[52:55], a[148:149], a[20:21], v[52:55]// 000000008C20: D3CD0034 1CD22994
	v_mfma_f32_16x16x16_f16 v[52:55], a[150:151], a[22:23], v[52:55]// 000000008C28: D3CD0034 1CD22D96
	ds_write_b64 v20, v[134:135] offset:25856                  // 000000008C30: D89A6500 00008614
	v_mfma_f32_16x16x16_f16 v[52:55], a[152:153], a[24:25], v[52:55]// 000000008C38: D3CD0034 1CD23198
	buffer_atomic_add_f32 v141, v8, s[32:35], 0 offen offset:256// 000000008C40: E1341100 80088D08
	v_mfma_f32_16x16x16_f16 v[52:55], a[154:155], a[26:27], v[52:55]// 000000008C48: D3CD0034 1CD2359A
	ds_read_b128 v[108:111], v12 offset:13056                  // 000000008C50: D9FE3300 6C00000C
	ds_write_b32 v11, v32                                      // 000000008C58: D81A0000 0000200B
	v_mfma_f32_16x16x16_f16 v[52:55], a[156:157], a[28:29], v[52:55]// 000000008C60: D3CD0034 1CD2399C
	v_mfma_f32_16x16x16_f16 v[52:55], a[158:159], a[30:31], v[52:55]// 000000008C68: D3CD0034 1CD23D9E
	v_mfma_f32_16x16x16_f16 v[56:59], a[144:145], a[32:33], 0  // 000000008C70: D3CD0038 1A024190
	ds_read_b128 v[112:115], v12 offset:13568                  // 000000008C78: D9FE3500 7000000C
	ds_write_b32 v11, v33 offset:1056                          // 000000008C80: D81A0420 0000210B
	v_mfma_f32_16x16x16_f16 v[56:59], a[146:147], a[34:35], v[56:59]// 000000008C88: D3CD0038 1CE24592
	buffer_atomic_add_f32 v142, v7, s[32:35], 0 offen offset:384// 000000008C90: E1341180 80088E07
	v_mfma_f32_16x16x16_f16 v[56:59], a[148:149], a[36:37], v[56:59]// 000000008C98: D3CD0038 1CE24994
	v_mfma_f32_16x16x16_f16 v[56:59], a[150:151], a[38:39], v[56:59]// 000000008CA0: D3CD0038 1CE24D96
	ds_read_b128 v[116:119], v12 offset:15232                  // 000000008CA8: D9FE3B80 7400000C
	ds_write_b32 v11, v34 offset:128                           // 000000008CB0: D81A0080 0000220B
	v_mfma_f32_16x16x16_f16 v[56:59], a[152:153], a[40:41], v[56:59]// 000000008CB8: D3CD0038 1CE25198
	v_mfma_f32_16x16x16_f16 v[56:59], a[154:155], a[42:43], v[56:59]// 000000008CC0: D3CD0038 1CE2559A
	buffer_atomic_add_f32 v143, v8, s[32:35], 0 offen offset:384// 000000008CC8: E1341180 80088F08
	v_mfma_f32_16x16x16_f16 v[56:59], a[156:157], a[44:45], v[56:59]// 000000008CD0: D3CD0038 1CE2599C
	ds_read_b128 v[120:123], v12 offset:15744                  // 000000008CD8: D9FE3D80 7800000C
	ds_write_b32 v11, v35 offset:1184                          // 000000008CE0: D81A04A0 0000230B
	v_mfma_f32_16x16x16_f16 v[56:59], a[158:159], a[46:47], v[56:59]// 000000008CE8: D3CD0038 1CE25D9E
	s_cmp_eq_i32 s82, 0                                        // 000000008CF0: BF008052
	s_cbranch_scc1 label_1461                                  // 000000008CF4: BF85008F
	s_cmp_lt_i32 s74, 12                                       // 000000008CF8: BF048C4A
	s_cbranch_scc0 label_140C                                  // 000000008CFC: BF84003D
	s_lshl_b32 s60, s74, 4                                     // 000000008D00: 8E3C844A
	v_sub_i32 v28, v252, s60                                   // 000000008D04: D29D001C 000079FC
	s_mov_b32 s61, 0                                           // 000000008D0C: BEBD0080
	v_add_i32 v29, v28, s61                                    // 000000008D10: D29C001D 00007B1C
	v_cmp_gt_i32_e64 s[88:89], v29, 0                          // 000000008D18: D0C40058 0001011D
	v_cmp_gt_i32_e64 s[92:93], v29, 1                          // 000000008D20: D0C4005C 0001031D
	v_cndmask_b32_e64 v48, v48, v151, s[88:89]                 // 000000008D28: D1000030 01632F30
	v_cndmask_b32_e64 v49, v49, v151, s[92:93]                 // 000000008D30: D1000031 01732F31
	v_cmp_gt_i32_e64 s[88:89], v29, 2                          // 000000008D38: D0C40058 0001051D
	v_cmp_gt_i32_e64 s[92:93], v29, 3                          // 000000008D40: D0C4005C 0001071D
	v_cndmask_b32_e64 v50, v50, v151, s[88:89]                 // 000000008D48: D1000032 01632F32
	v_cndmask_b32_e64 v51, v51, v151, s[92:93]                 // 000000008D50: D1000033 01732F33
	s_mov_b32 s61, 64                                          // 000000008D58: BEBD00C0
	v_add_i32 v29, v28, s61                                    // 000000008D5C: D29C001D 00007B1C
	v_cmp_gt_i32_e64 s[88:89], v29, 0                          // 000000008D64: D0C40058 0001011D
	v_cmp_gt_i32_e64 s[92:93], v29, 1                          // 000000008D6C: D0C4005C 0001031D
	v_cndmask_b32_e64 v52, v52, v151, s[88:89]                 // 000000008D74: D1000034 01632F34
	v_cndmask_b32_e64 v53, v53, v151, s[92:93]                 // 000000008D7C: D1000035 01732F35
	v_cmp_gt_i32_e64 s[88:89], v29, 2                          // 000000008D84: D0C40058 0001051D
	v_cmp_gt_i32_e64 s[92:93], v29, 3                          // 000000008D8C: D0C4005C 0001071D
	v_cndmask_b32_e64 v54, v54, v151, s[88:89]                 // 000000008D94: D1000036 01632F36
	v_cndmask_b32_e64 v55, v55, v151, s[92:93]                 // 000000008D9C: D1000037 01732F37
	s_mov_b32 s61, 0x80                                        // 000000008DA4: BEBD00FF 00000080
	v_add_i32 v29, v28, s61                                    // 000000008DAC: D29C001D 00007B1C
	v_cmp_gt_i32_e64 s[88:89], v29, 0                          // 000000008DB4: D0C40058 0001011D
	v_cmp_gt_i32_e64 s[92:93], v29, 1                          // 000000008DBC: D0C4005C 0001031D
	v_cndmask_b32_e64 v56, v56, v151, s[88:89]                 // 000000008DC4: D1000038 01632F38
	v_cndmask_b32_e64 v57, v57, v151, s[92:93]                 // 000000008DCC: D1000039 01732F39
	v_cmp_gt_i32_e64 s[88:89], v29, 2                          // 000000008DD4: D0C40058 0001051D
	v_cmp_gt_i32_e64 s[92:93], v29, 3                          // 000000008DDC: D0C4005C 0001071D
	v_cndmask_b32_e64 v58, v58, v151, s[88:89]                 // 000000008DE4: D100003A 01632F3A
	v_cndmask_b32_e64 v59, v59, v151, s[92:93]                 // 000000008DEC: D100003B 01732F3B

0000000000008df4 <label_140C>:
	s_cmp_lt_i32 s84, 0xc0                                     // 000000008DF4: BF04FF54 000000C0
	s_cbranch_scc0 label_1461                                  // 000000008DFC: BF84004D
	s_cmp_le_i32 s84, 64                                       // 000000008E00: BF05C054
	s_cbranch_scc1 label_1418                                  // 000000008E04: BF850007
	s_cmp_le_i32 s84, 0x80                                     // 000000008E08: BF05FF54 00000080
	s_cbranch_scc1 label_1430                                  // 000000008E10: BF850017
	s_cmp_lt_i32 s84, 0xc0                                     // 000000008E14: BF04FF54 000000C0
	s_cbranch_scc1 label_1448                                  // 000000008E1C: BF85002C
	s_branch label_1461                                        // 000000008E20: BF820044

0000000000008e24 <label_1418>:
	s_mov_b32 s60, 0                                           // 000000008E24: BEBC0080
	v_and_b32_e32 v28, 15, v0                                  // 000000008E28: 2638008F
	v_add_u32_e64 v28, v28, s60                                // 000000008E2C: D134001C 0000791C
	v_mul_i32_i24_e64 v29, s46, 16                             // 000000008E34: D106001D 0001202E
	v_add_u32_e32 v28, v28, v29                                // 000000008E3C: 68383B1C
	v_cmp_lt_u32_e64 s[60:61], v28, s84                        // 000000008E40: D0C9003C 0000A91C
	s_nop 1                                                    // 000000008E48: BF800001
	v_cndmask_b32_e64 v48, v151, v48, s[60:61]                 // 000000008E4C: D1000030 00F26197
	v_cndmask_b32_e64 v49, v151, v49, s[60:61]                 // 000000008E54: D1000031 00F26397
	v_cndmask_b32_e64 v50, v151, v50, s[60:61]                 // 000000008E5C: D1000032 00F26597
	v_cndmask_b32_e64 v51, v151, v51, s[60:61]                 // 000000008E64: D1000033 00F26797
	s_branch label_1443                                        // 000000008E6C: BF820013

0000000000008e70 <label_1430>:
	s_mov_b32 s60, 64                                          // 000000008E70: BEBC00C0
	v_and_b32_e32 v28, 15, v0                                  // 000000008E74: 2638008F
	v_add_u32_e64 v28, v28, s60                                // 000000008E78: D134001C 0000791C
	v_mul_i32_i24_e64 v29, s46, 16                             // 000000008E80: D106001D 0001202E
	v_add_u32_e32 v28, v28, v29                                // 000000008E88: 68383B1C
	v_cmp_lt_u32_e64 s[60:61], v28, s84                        // 000000008E8C: D0C9003C 0000A91C
	s_nop 1                                                    // 000000008E94: BF800001
	v_cndmask_b32_e64 v52, v151, v52, s[60:61]                 // 000000008E98: D1000034 00F26997
	v_cndmask_b32_e64 v53, v151, v53, s[60:61]                 // 000000008EA0: D1000035 00F26B97
	v_cndmask_b32_e64 v54, v151, v54, s[60:61]                 // 000000008EA8: D1000036 00F26D97
	v_cndmask_b32_e64 v55, v151, v55, s[60:61]                 // 000000008EB0: D1000037 00F26F97
	s_branch label_145C                                        // 000000008EB8: BF820019

0000000000008ebc <label_1443>:
	v_mov_b32_e32 v52, v151                                    // 000000008EBC: 7E680397
	v_mov_b32_e32 v53, v151                                    // 000000008EC0: 7E6A0397
	v_mov_b32_e32 v54, v151                                    // 000000008EC4: 7E6C0397
	v_mov_b32_e32 v55, v151                                    // 000000008EC8: 7E6E0397
	s_branch label_145C                                        // 000000008ECC: BF820014

0000000000008ed0 <label_1448>:
	s_mov_b32 s60, 0x80                                        // 000000008ED0: BEBC00FF 00000080
	v_and_b32_e32 v28, 15, v0                                  // 000000008ED8: 2638008F
	v_add_u32_e64 v28, v28, s60                                // 000000008EDC: D134001C 0000791C
	v_mul_i32_i24_e64 v29, s46, 16                             // 000000008EE4: D106001D 0001202E
	v_add_u32_e32 v28, v28, v29                                // 000000008EEC: 68383B1C
	v_cmp_lt_u32_e64 s[60:61], v28, s84                        // 000000008EF0: D0C9003C 0000A91C
	s_nop 1                                                    // 000000008EF8: BF800001
	v_cndmask_b32_e64 v56, v151, v56, s[60:61]                 // 000000008EFC: D1000038 00F27197
	v_cndmask_b32_e64 v57, v151, v57, s[60:61]                 // 000000008F04: D1000039 00F27397
	v_cndmask_b32_e64 v58, v151, v58, s[60:61]                 // 000000008F0C: D100003A 00F27597
	v_cndmask_b32_e64 v59, v151, v59, s[60:61]                 // 000000008F14: D100003B 00F27797
	s_branch label_1461                                        // 000000008F1C: BF820005

0000000000008f20 <label_145C>:
	v_mov_b32_e32 v56, v151                                    // 000000008F20: 7E700397
	v_mov_b32_e32 v57, v151                                    // 000000008F24: 7E720397
	v_mov_b32_e32 v58, v151                                    // 000000008F28: 7E740397
	v_mov_b32_e32 v59, v151                                    // 000000008F2C: 7E760397
	s_branch label_1461                                        // 000000008F30: BF820000

0000000000008f34 <label_1461>:
	s_addk_i32 s74, 0x1                                        // 000000008F34: B74A0001
	s_waitcnt lgkmcnt(8)                                       // 000000008F38: BF8CC87F
	s_barrier                                                  // 000000008F3C: BF8A0000
	v_mfma_f32_16x16x16_f16 v[72:75], v[92:93], a[96:97], 0    // 000000008F40: D3CD0048 1202C15C
	v_fma_f32 v48, v48, s57, -v124                             // 000000008F48: D1CB0030 85F07330
	v_fma_f32 v49, v49, s57, -v125                             // 000000008F50: D1CB0031 85F47331
	v_fma_f32 v50, v50, s57, -v126                             // 000000008F58: D1CB0032 85F87332
	v_mfma_f32_16x16x16_f16 v[72:75], v[94:95], a[98:99], v[72:75]// 000000008F60: D3CD0048 1522C55E
	ds_read_b128 a[144:147], v12 offset:4352                   // 000000008F68: DBFE1100 9000000C
	ds_read_b128 a[148:151], v12 offset:4864                   // 000000008F70: DBFE1300 9400000C
	v_mfma_f32_16x16x16_f16 v[72:75], v[96:97], a[100:101], v[72:75]// 000000008F78: D3CD0048 1522C960
	v_fma_f32 v51, v51, s57, -v127                             // 000000008F80: D1CB0033 85FC7333
	v_fma_f32 v52, v52, s57, -v124                             // 000000008F88: D1CB0034 85F07334
	v_fma_f32 v53, v53, s57, -v125                             // 000000008F90: D1CB0035 85F47335
	v_mfma_f32_16x16x16_f16 v[72:75], v[98:99], a[102:103], v[72:75]// 000000008F98: D3CD0048 1522CD62
	v_fma_f32 v54, v54, s57, -v126                             // 000000008FA0: D1CB0036 85F87336
	v_fma_f32 v55, v55, s57, -v127                             // 000000008FA8: D1CB0037 85FC7337
	v_fma_f32 v56, v56, s57, -v124                             // 000000008FB0: D1CB0038 85F07338
	v_mfma_f32_16x16x16_f16 v[72:75], v[100:101], a[104:105], v[72:75]// 000000008FB8: D3CD0048 1522D164
	v_fma_f32 v57, v57, s57, -v125                             // 000000008FC0: D1CB0039 85F47339
	v_fma_f32 v58, v58, s57, -v126                             // 000000008FC8: D1CB003A 85F8733A
	v_fma_f32 v59, v59, s57, -v127                             // 000000008FD0: D1CB003B 85FC733B
	v_mfma_f32_16x16x16_f16 v[72:75], v[102:103], a[106:107], v[72:75]// 000000008FD8: D3CD0048 1522D566
	ds_read_b128 a[152:155], v12 offset:6528                   // 000000008FE0: DBFE1980 9800000C
	ds_read_b128 a[156:159], v12 offset:7040                   // 000000008FE8: DBFE1B80 9C00000C
	v_mfma_f32_16x16x16_f16 v[72:75], v[104:105], a[108:109], v[72:75]// 000000008FF0: D3CD0048 1522D968
	v_exp_f32_e32 v48, v48                                     // 000000008FF8: 7E604130
	v_mfma_f32_16x16x16_f16 v[72:75], v[106:107], a[110:111], v[72:75]// 000000008FFC: D3CD0048 1522DD6A
	v_exp_f32_e32 v49, v49                                     // 000000009004: 7E624131
	v_mfma_f32_16x16x16_f16 v[76:79], v[92:93], a[112:113], 0  // 000000009008: D3CD004C 1202E15C
	v_exp_f32_e32 v50, v50                                     // 000000009010: 7E644132
	v_mfma_f32_16x16x16_f16 v[76:79], v[94:95], a[114:115], v[76:79]// 000000009014: D3CD004C 1532E55E
	ds_read_b64 v[136:137], v19 offset:24320                   // 00000000901C: D8EC5F00 88000013
	ds_read_b64 v[138:139], v19 offset:26368                   // 000000009024: D8EC6700 8A000013
	v_mfma_f32_16x16x16_f16 v[76:79], v[96:97], a[116:117], v[76:79]// 00000000902C: D3CD004C 1532E960
	v_exp_f32_e32 v51, v51                                     // 000000009034: 7E664133
	v_mfma_f32_16x16x16_f16 v[76:79], v[98:99], a[118:119], v[76:79]// 000000009038: D3CD004C 1532ED62
	ds_read_b64 v[140:141], v19 offset:28416                   // 000000009040: D8EC6F00 8C000013
	ds_read_b64 v[142:143], v19 offset:30464                   // 000000009048: D8EC7700 8E000013
	v_mfma_f32_16x16x16_f16 v[76:79], v[100:101], a[120:121], v[76:79]// 000000009050: D3CD004C 1532F164
	v_exp_f32_e32 v52, v52                                     // 000000009058: 7E684134
	v_mfma_f32_16x16x16_f16 v[76:79], v[102:103], a[122:123], v[76:79]// 00000000905C: D3CD004C 1532F566
	v_exp_f32_e32 v53, v53                                     // 000000009064: 7E6A4135
	v_mfma_f32_16x16x16_f16 v[76:79], v[104:105], a[124:125], v[76:79]// 000000009068: D3CD004C 1532F968
	v_exp_f32_e32 v54, v54                                     // 000000009070: 7E6C4136
	v_mfma_f32_16x16x16_f16 v[76:79], v[106:107], a[126:127], v[76:79]// 000000009074: D3CD004C 1532FD6A
	v_exp_f32_e32 v55, v55                                     // 00000000907C: 7E6E4137
	v_mfma_f32_16x16x16_f16 v[80:83], v[92:93], a[128:129], 0  // 000000009080: D3CD0050 1203015C
	v_exp_f32_e32 v56, v56                                     // 000000009088: 7E704138
	v_mfma_f32_16x16x16_f16 v[80:83], v[94:95], a[130:131], v[80:83]// 00000000908C: D3CD0050 1543055E
	v_exp_f32_e32 v57, v57                                     // 000000009094: 7E724139
	v_mfma_f32_16x16x16_f16 v[80:83], v[96:97], a[132:133], v[80:83]// 000000009098: D3CD0050 15430960
	v_exp_f32_e32 v58, v58                                     // 0000000090A0: 7E74413A
	v_mfma_f32_16x16x16_f16 v[80:83], v[98:99], a[134:135], v[80:83]// 0000000090A4: D3CD0050 15430D62
	v_exp_f32_e32 v59, v59                                     // 0000000090AC: 7E76413B
	v_mfma_f32_16x16x16_f16 v[80:83], v[100:101], a[136:137], v[80:83]// 0000000090B0: D3CD0050 15431164
	v_cvt_pkrtz_f16_f32 v144, v48, v49                         // 0000000090B8: D2960090 00026330
	v_cvt_pkrtz_f16_f32 v145, v50, v51                         // 0000000090C0: D2960091 00026732
	v_cvt_pkrtz_f16_f32 v146, v52, v53                         // 0000000090C8: D2960092 00026B34
	v_mfma_f32_16x16x16_f16 v[80:83], v[102:103], a[138:139], v[80:83]// 0000000090D0: D3CD0050 15431566
	v_cvt_pkrtz_f16_f32 v147, v54, v55                         // 0000000090D8: D2960093 00026F36
	v_cvt_pkrtz_f16_f32 v148, v56, v57                         // 0000000090E0: D2960094 00027338
	v_cvt_pkrtz_f16_f32 v149, v58, v59                         // 0000000090E8: D2960095 0002773A
	v_mfma_f32_16x16x16_f16 v[80:83], v[104:105], a[140:141], v[80:83]// 0000000090F0: D3CD0050 15431968
	v_add_u32_e32 v7, s66, v7                                  // 0000000090F8: 680E0E42
	v_add_u32_e32 v8, s66, v8                                  // 0000000090FC: 68101042
	v_mfma_f32_16x16x16_f16 v[80:83], v[106:107], a[142:143], v[80:83]// 000000009100: D3CD0050 15431D6A
	s_waitcnt lgkmcnt(0)                                       // 000000009108: BF8CC07F
	s_barrier                                                  // 00000000910C: BF8A0000
	v_mfma_f32_16x16x16_f16 v[152:155], v[108:109], v[144:145], v[152:155]// 000000009110: D3CD0098 0663216C
	v_subrev_f32_dpp v72, v150, v72 quad_perm:[0,0,0,0] row_mask:0xf bank_mask:0xf// 000000009118: 069090FA FF000096
	v_subrev_f32_dpp v73, v150, v73 quad_perm:[1,1,1,1] row_mask:0xf bank_mask:0xf// 000000009120: 069292FA FF005596
	v_subrev_f32_dpp v74, v150, v74 quad_perm:[2,2,2,2] row_mask:0xf bank_mask:0xf// 000000009128: 069494FA FF00AA96
	v_mfma_f32_16x16x16_f16 v[156:159], v[110:111], v[144:145], v[156:159]// 000000009130: D3CD009C 0673216E
	v_subrev_f32_dpp v75, v150, v75 quad_perm:[3,3,3,3] row_mask:0xf bank_mask:0xf// 000000009138: 069696FA FF00FF96
	v_subrev_f32_dpp v76, v150, v76 quad_perm:[0,0,0,0] row_mask:0xf bank_mask:0xf// 000000009140: 069898FA FF000096
	v_subrev_f32_dpp v77, v150, v77 quad_perm:[1,1,1,1] row_mask:0xf bank_mask:0xf// 000000009148: 069A9AFA FF005596
	v_mfma_f32_16x16x16_f16 v[160:163], v[112:113], v[144:145], v[160:163]// 000000009150: D3CD00A0 06832170
	v_mul_f32_e32 v72, v48, v72                                // 000000009158: 0A909130
	v_mul_f32_e32 v73, v49, v73                                // 00000000915C: 0A929331
	v_mul_f32_e32 v74, v50, v74                                // 000000009160: 0A949532
	v_mfma_f32_16x16x16_f16 v[164:167], v[114:115], v[144:145], v[164:167]// 000000009164: D3CD00A4 06932172
	v_mul_f32_e32 v75, v51, v75                                // 00000000916C: 0A969733
	v_mul_f32_e32 v76, v52, v76                                // 000000009170: 0A989934
	v_mul_f32_e32 v77, v53, v77                                // 000000009174: 0A9A9B35
	v_mfma_f32_16x16x16_f16 v[168:171], v[116:117], v[144:145], v[168:171]// 000000009178: D3CD00A8 06A32174
	v_cvt_pkrtz_f16_f32 v72, v72, v73                          // 000000009180: D2960048 00029348
	v_cvt_pkrtz_f16_f32 v73, v74, v75                          // 000000009188: D2960049 0002974A
	v_cvt_pkrtz_f16_f32 v74, v76, v77                          // 000000009190: D296004A 00029B4C
	v_mfma_f32_16x16x16_f16 v[172:175], v[118:119], v[144:145], v[172:175]// 000000009198: D3CD00AC 06B32176
	v_mov_b32_dpp v16, v72 quad_perm:[1,0,3,2] row_mask:0xf bank_mask:0xf// 0000000091A0: 7E2002FA FF00B148
	v_perm_b32 v48, v16, v72, v15                              // 0000000091A8: D1ED0030 043E9110
	v_mov_b32_dpp v16, v73 quad_perm:[1,0,3,2] row_mask:0xf bank_mask:0xf// 0000000091B0: 7E2002FA FF00B149
	v_mfma_f32_16x16x16_f16 v[176:179], v[120:121], v[144:145], v[176:179]// 0000000091B8: D3CD00B0 06C32178
	ds_write_b32 v18, v48 offset:17408                         // 0000000091C0: D81A4400 00003012
	v_mfma_f32_16x16x16_f16 v[180:183], v[122:123], v[144:145], v[180:183]// 0000000091C8: D3CD00B4 06D3217A
	v_perm_b32 v49, v16, v73, v15                              // 0000000091D0: D1ED0031 043E9310
	v_mov_b32_dpp v16, v74 quad_perm:[1,0,3,2] row_mask:0xf bank_mask:0xf// 0000000091D8: 7E2002FA FF00B14A
	v_perm_b32 v50, v16, v74, v15                              // 0000000091E0: D1ED0032 043E9510
	v_mfma_f32_16x16x16_f16 v[184:187], v[108:109], v[146:147], v[184:187]// 0000000091E8: D3CD00B8 06E3256C
	ds_write_b32 v18, v49 offset:17952                         // 0000000091F0: D81A4620 00003112
	v_mfma_f32_16x16x16_f16 v[188:191], v[110:111], v[146:147], v[188:191]// 0000000091F8: D3CD00BC 06F3256E
	v_subrev_f32_dpp v78, v150, v78 quad_perm:[2,2,2,2] row_mask:0xf bank_mask:0xf// 000000009200: 069C9CFA FF00AA96
	v_subrev_f32_dpp v79, v150, v79 quad_perm:[3,3,3,3] row_mask:0xf bank_mask:0xf// 000000009208: 069E9EFA FF00FF96
	v_subrev_f32_dpp v80, v150, v80 quad_perm:[0,0,0,0] row_mask:0xf bank_mask:0xf// 000000009210: 06A0A0FA FF000096
	v_mfma_f32_16x16x16_f16 v[192:195], v[112:113], v[146:147], v[192:195]// 000000009218: D3CD00C0 07032570
	ds_write_b32 v18, v50 offset:19712                         // 000000009220: D81A4D00 00003212
	v_mfma_f32_16x16x16_f16 v[196:199], v[114:115], v[146:147], v[196:199]// 000000009228: D3CD00C4 07132572
	v_subrev_f32_dpp v81, v150, v81 quad_perm:[1,1,1,1] row_mask:0xf bank_mask:0xf// 000000009230: 06A2A2FA FF005596
	v_subrev_f32_dpp v82, v150, v82 quad_perm:[2,2,2,2] row_mask:0xf bank_mask:0xf// 000000009238: 06A4A4FA FF00AA96
	v_subrev_f32_dpp v83, v150, v83 quad_perm:[3,3,3,3] row_mask:0xf bank_mask:0xf// 000000009240: 06A6A6FA FF00FF96
	v_mfma_f32_16x16x16_f16 v[200:203], v[116:117], v[146:147], v[200:203]// 000000009248: D3CD00C8 07232574
	v_mul_f32_e32 v78, v54, v78                                // 000000009250: 0A9C9D36
	v_mul_f32_e32 v79, v55, v79                                // 000000009254: 0A9E9F37
	v_mul_f32_e32 v80, v56, v80                                // 000000009258: 0AA0A138
	v_mfma_f32_16x16x16_f16 v[204:207], v[118:119], v[146:147], v[204:207]// 00000000925C: D3CD00CC 07332576
	v_mul_f32_e32 v81, v57, v81                                // 000000009264: 0AA2A339
	v_mul_f32_e32 v82, v58, v82                                // 000000009268: 0AA4A53A
	v_mul_f32_e32 v83, v59, v83                                // 00000000926C: 0AA6A73B
	v_mfma_f32_16x16x16_f16 v[208:211], v[120:121], v[146:147], v[208:211]// 000000009270: D3CD00D0 07432578
	v_cvt_pkrtz_f16_f32 v75, v78, v79                          // 000000009278: D296004B 00029F4E
	v_cvt_pkrtz_f16_f32 v76, v80, v81                          // 000000009280: D296004C 0002A350
	v_cvt_pkrtz_f16_f32 v77, v82, v83                          // 000000009288: D296004D 0002A752
	v_mfma_f32_16x16x16_f16 v[212:215], v[122:123], v[146:147], v[212:215]// 000000009290: D3CD00D4 0753257A
	v_mov_b32_dpp v16, v75 quad_perm:[1,0,3,2] row_mask:0xf bank_mask:0xf// 000000009298: 7E2002FA FF00B14B
	v_perm_b32 v51, v16, v75, v15                              // 0000000092A0: D1ED0033 043E9710
	v_mov_b32_dpp v16, v76 quad_perm:[1,0,3,2] row_mask:0xf bank_mask:0xf// 0000000092A8: 7E2002FA FF00B14C
	v_mfma_f32_16x16x16_f16 v[216:219], v[108:109], v[148:149], v[216:219]// 0000000092B0: D3CD00D8 0763296C
	ds_write_b32 v18, v51 offset:20256                         // 0000000092B8: D81A4F20 00003312
	v_mfma_f32_16x16x16_f16 v[220:223], v[110:111], v[148:149], v[220:223]// 0000000092C0: D3CD00DC 0773296E
	v_perm_b32 v52, v16, v76, v15                              // 0000000092C8: D1ED0034 043E9910
	v_mov_b32_dpp v16, v77 quad_perm:[1,0,3,2] row_mask:0xf bank_mask:0xf// 0000000092D0: 7E2002FA FF00B14D
	v_perm_b32 v53, v16, v77, v15                              // 0000000092D8: D1ED0035 043E9B10
	v_mfma_f32_16x16x16_f16 v[224:227], v[112:113], v[148:149], v[224:227]// 0000000092E0: D3CD00E0 07832970
	ds_write_b32 v18, v52 offset:22016                         // 0000000092E8: D81A5600 00003412
	ds_write_b32 v18, v53 offset:22560                         // 0000000092F0: D81A5820 00003512
	v_mfma_f32_16x16x16_f16 v[228:231], v[114:115], v[148:149], v[228:231]// 0000000092F8: D3CD00E4 07932972
	v_mfma_f32_16x16x16_f16 v[232:235], v[116:117], v[148:149], v[232:235]// 000000009300: D3CD00E8 07A32974
	ds_write_b32 v13, v84 offset:4352                          // 000000009308: D81A1100 0000540D
	ds_write_b32 v13, v85 offset:5408                          // 000000009310: D81A1520 0000550D
	v_mfma_f32_16x16x16_f16 v[236:239], v[118:119], v[148:149], v[236:239]// 000000009318: D3CD00EC 07B32976
	v_mfma_f32_16x16x16_f16 v[240:243], v[120:121], v[148:149], v[240:243]// 000000009320: D3CD00F0 07C32978
	ds_write_b32 v13, v86 offset:4480                          // 000000009328: D81A1180 0000560D
	ds_write_b32 v13, v87 offset:5536                          // 000000009330: D81A15A0 0000570D
	v_mfma_f32_16x16x16_f16 v[244:247], v[122:123], v[148:149], v[244:247]// 000000009338: D3CD00F4 07D3297A
	s_nop 0                                                    // 000000009340: BF800000
	s_nop 0                                                    // 000000009344: BF800000
	s_nop 0                                                    // 000000009348: BF800000
	s_barrier                                                  // 00000000934C: BF8A0000
	v_mfma_f32_16x16x16_f16 a[160:163], a[144:145], v[72:73], a[160:163]// 000000009350: D3CD80A0 0E829190
	ds_read_b32 v124, v21 offset:50688                         // 000000009358: D86CC600 7C000015
	ds_read_b32 v150, v21 offset:50944                         // 000000009360: D86CC700 96000015
	v_mfma_f32_16x16x16_f16 a[164:167], a[146:147], v[72:73], a[164:167]// 000000009368: D3CD80A4 0E929192
	buffer_atomic_add_f32 v136, v7, s[32:35], 0 offen          // 000000009370: E1341000 80088807
	v_mfma_f32_16x16x16_f16 a[168:171], a[148:149], v[72:73], a[168:171]// 000000009378: D3CD80A8 0EA29194
	s_waitcnt lgkmcnt(6)                                       // 000000009380: BF8CC67F
	s_barrier                                                  // 000000009384: BF8A0000
	v_mfma_f32_16x16x16_f16 a[172:175], a[150:151], v[72:73], a[172:175]// 000000009388: D3CD80AC 0EB29196
	v_mfma_f32_16x16x16_f16 a[176:179], a[152:153], v[72:73], a[176:179]// 000000009390: D3CD80B0 0EC29198
	ds_read_b128 v[48:51], v17 offset:17408                    // 000000009398: D9FE4400 30000011
	v_mfma_f32_16x16x16_f16 a[180:183], a[154:155], v[72:73], a[180:183]// 0000000093A0: D3CD80B4 0ED2919A
	v_mfma_f32_16x16x16_f16 a[184:187], a[156:157], v[72:73], a[184:187]// 0000000093A8: D3CD80B8 0EE2919C
	ds_read_b128 v[52:55], v17 offset:18560                    // 0000000093B0: D9FE4880 34000011
	v_mfma_f32_16x16x16_f16 a[188:191], a[158:159], v[72:73], a[188:191]// 0000000093B8: D3CD80BC 0EF2919E
	buffer_atomic_add_f32 v137, v8, s[32:35], 0 offen          // 0000000093C0: E1341000 80088908
	v_mfma_f32_16x16x16_f16 a[192:195], a[144:145], v[74:75], a[192:195]// 0000000093C8: D3CD80C0 0F029590
	ds_read_b128 v[56:59], v17 offset:19712                    // 0000000093D0: D9FE4D00 38000011
	v_mfma_f32_16x16x16_f16 a[196:199], a[146:147], v[74:75], a[196:199]// 0000000093D8: D3CD80C4 0F129592
	v_mfma_f32_16x16x16_f16 a[200:203], a[148:149], v[74:75], a[200:203]// 0000000093E0: D3CD80C8 0F229594
	ds_read_b128 v[60:63], v17 offset:20864                    // 0000000093E8: D9FE5180 3C000011
	v_mfma_f32_16x16x16_f16 a[204:207], a[150:151], v[74:75], a[204:207]// 0000000093F0: D3CD80CC 0F329596
	v_mfma_f32_16x16x16_f16 a[208:211], a[152:153], v[74:75], a[208:211]// 0000000093F8: D3CD80D0 0F429598
	ds_read_b128 v[64:67], v17 offset:22016                    // 000000009400: D9FE5600 40000011
	v_mfma_f32_16x16x16_f16 a[212:215], a[154:155], v[74:75], a[212:215]// 000000009408: D3CD80D4 0F52959A
	buffer_atomic_add_f32 v138, v7, s[32:35], 0 offen offset:128// 000000009410: E1341080 80088A07
	v_mfma_f32_16x16x16_f16 a[216:219], a[156:157], v[74:75], a[216:219]// 000000009418: D3CD80D8 0F62959C
	ds_read_b128 v[68:71], v17 offset:23168                    // 000000009420: D9FE5A80 44000011
	v_mfma_f32_16x16x16_f16 a[220:223], a[158:159], v[74:75], a[220:223]// 000000009428: D3CD80DC 0F72959E
	v_mfma_f32_16x16x16_f16 a[224:227], a[144:145], v[76:77], a[224:227]// 000000009430: D3CD80E0 0F829990
	ds_write_b32 v13, v88 offset:13056                         // 000000009438: D81A3300 0000580D
	v_mfma_f32_16x16x16_f16 a[228:231], a[146:147], v[76:77], a[228:231]// 000000009440: D3CD80E4 0F929992
	v_mfma_f32_16x16x16_f16 a[232:235], a[148:149], v[76:77], a[232:235]// 000000009448: D3CD80E8 0FA29994
	ds_write_b32 v13, v89 offset:14112                         // 000000009450: D81A3720 0000590D
	v_mfma_f32_16x16x16_f16 a[236:239], a[150:151], v[76:77], a[236:239]// 000000009458: D3CD80EC 0FB29996
	buffer_atomic_add_f32 v139, v8, s[32:35], 0 offen offset:128// 000000009460: E1341080 80088B08
	v_mfma_f32_16x16x16_f16 a[240:243], a[152:153], v[76:77], a[240:243]// 000000009468: D3CD80F0 0FC29998
	ds_write_b32 v13, v90 offset:13184                         // 000000009470: D81A3380 00005A0D
	v_mfma_f32_16x16x16_f16 a[244:247], a[154:155], v[76:77], a[244:247]// 000000009478: D3CD80F4 0FD2999A
	v_mfma_f32_16x16x16_f16 a[248:251], a[156:157], v[76:77], a[248:251]// 000000009480: D3CD80F8 0FE2999C
	ds_write_b32 v13, v91 offset:14240                         // 000000009488: D81A37A0 00005B0D
	v_mfma_f32_16x16x16_f16 a[252:255], a[158:159], v[76:77], a[252:255]// 000000009490: D3CD80FC 0FF2999E
	s_waitcnt vmcnt(8) lgkmcnt(4)                              // 000000009498: BF8C0478
	s_barrier                                                  // 00000000949C: BF8A0000
	v_mfma_f32_16x16x16_f16 v[128:131], v[48:49], a[48:49], 0  // 0000000094A0: D3CD0080 12026130
	ds_read_b128 a[144:147], v10                               // 0000000094A8: DBFE0000 9000000A
	v_mov_b32_e32 v32, 0                                       // 0000000094B0: 7E400280
	s_mov_b64 exec, s[80:81]                                   // 0000000094B4: BEFE0150
	buffer_load_dword v32, v1, s[8:11], 0 idxen                // 0000000094B8: E0502000 80022001
	s_mov_b32 exec_lo, -1                                      // 0000000094C0: BEFE00C1
	s_mov_b32 exec_hi, -1                                      // 0000000094C4: BEFF00C1
	v_mfma_f32_16x16x16_f16 v[128:131], v[50:51], a[52:53], v[128:131]// 0000000094C8: D3CD0080 16026932
	v_mul_f32_e32 v124, s48, v124                              // 0000000094D0: 0AF8F830
	s_nop 0                                                    // 0000000094D4: BF800000
	v_mfma_f32_16x16x16_f16 v[128:131], v[52:53], a[56:57], v[128:131]// 0000000094D8: D3CD0080 16027134
	ds_read_b128 a[148:151], v10 offset:512                    // 0000000094E0: DBFE0200 9400000A
	v_mov_b32_e32 v33, 0                                       // 0000000094E8: 7E420280
	s_mov_b64 exec, s[80:81]                                   // 0000000094EC: BEFE0150
	buffer_load_dword v33, v2, s[8:11], 0 idxen                // 0000000094F0: E0502000 80022102
	s_mov_b32 exec_lo, -1                                      // 0000000094F8: BEFE00C1
	s_mov_b32 exec_hi, -1                                      // 0000000094FC: BEFF00C1
	v_mfma_f32_16x16x16_f16 v[128:131], v[54:55], a[60:61], v[128:131]// 000000009500: D3CD0080 16027936
	v_mfma_f32_16x16x16_f16 v[128:131], v[56:57], a[64:65], v[128:131]// 000000009508: D3CD0080 16028138
	ds_read_b128 a[152:155], v10 offset:2176                   // 000000009510: DBFE0880 9800000A
	v_mov_b32_e32 v34, 0                                       // 000000009518: 7E440280
	s_mov_b64 exec, s[80:81]                                   // 00000000951C: BEFE0150
	buffer_load_dword v34, v3, s[8:11], 0 idxen                // 000000009520: E0502000 80022203
	s_mov_b32 exec_lo, -1                                      // 000000009528: BEFE00C1
	s_mov_b32 exec_hi, -1                                      // 00000000952C: BEFF00C1
	v_mfma_f32_16x16x16_f16 v[128:131], v[58:59], a[68:69], v[128:131]// 000000009530: D3CD0080 1602893A
	v_perm_b32 v84, v37, v36, s63                              // 000000009538: D1ED0054 00FE4925
	v_perm_b32 v85, v37, v36, s64                              // 000000009540: D1ED0055 01024925
	v_mfma_f32_16x16x16_f16 v[128:131], v[60:61], a[72:73], v[128:131]// 000000009548: D3CD0080 1602913C
	ds_read_b128 a[156:159], v10 offset:2688                   // 000000009550: DBFE0A80 9C00000A
	v_mov_b32_e32 v35, 0                                       // 000000009558: 7E460280
	s_mov_b64 exec, s[80:81]                                   // 00000000955C: BEFE0150
	buffer_load_dword v35, v4, s[8:11], 0 idxen                // 000000009560: E0502000 80022304
	s_mov_b32 exec_lo, -1                                      // 000000009568: BEFE00C1
	s_mov_b32 exec_hi, -1                                      // 00000000956C: BEFF00C1
	v_mfma_f32_16x16x16_f16 v[128:131], v[62:63], a[76:77], v[128:131]// 000000009570: D3CD0080 1602993E
	v_perm_b32 v86, v39, v38, s63                              // 000000009578: D1ED0056 00FE4D27
	v_perm_b32 v87, v39, v38, s64                              // 000000009580: D1ED0057 01024D27
	v_mfma_f32_16x16x16_f16 v[128:131], v[64:65], a[80:81], v[128:131]// 000000009588: D3CD0080 1602A140
	ds_read_b128 v[92:95], v10 offset:8704                     // 000000009590: D9FE2200 5C00000A
	v_mov_b32_e32 v40, 0                                       // 000000009598: 7E500280
	s_mov_b64 exec, s[80:81]                                   // 00000000959C: BEFE0150
	buffer_load_dword v40, v248, s[20:23], 0 idxen             // 0000000095A0: E0502000 800528F8
	s_mov_b32 exec_lo, -1                                      // 0000000095A8: BEFE00C1
	s_mov_b32 exec_hi, -1                                      // 0000000095AC: BEFF00C1
	v_mfma_f32_16x16x16_f16 v[128:131], v[66:67], a[84:85], v[128:131]// 0000000095B0: D3CD0080 1602A942
	v_perm_b32 v88, v45, v44, s63                              // 0000000095B8: D1ED0058 00FE592D
	v_perm_b32 v89, v45, v44, s64                              // 0000000095C0: D1ED0059 0102592D
	v_mfma_f32_16x16x16_f16 v[128:131], v[68:69], a[88:89], v[128:131]// 0000000095C8: D3CD0080 1602B144
	ds_read_b128 v[96:99], v10 offset:9216                     // 0000000095D0: D9FE2400 6000000A
	v_mov_b32_e32 v41, 0                                       // 0000000095D8: 7E520280
	s_mov_b64 exec, s[80:81]                                   // 0000000095DC: BEFE0150
	buffer_load_dword v41, v249, s[20:23], 0 idxen             // 0000000095E0: E0502000 800529F9
	s_mov_b32 exec_lo, -1                                      // 0000000095E8: BEFE00C1
	s_mov_b32 exec_hi, -1                                      // 0000000095EC: BEFF00C1
	v_mfma_f32_16x16x16_f16 v[128:131], v[70:71], a[92:93], v[128:131]// 0000000095F0: D3CD0080 1602B946
	v_perm_b32 v90, v47, v46, s63                              // 0000000095F8: D1ED005A 00FE5D2F
	v_perm_b32 v91, v47, v46, s64                              // 000000009600: D1ED005B 01025D2F
	v_mfma_f32_16x16x16_f16 v[132:135], v[48:49], a[50:51], 0  // 000000009608: D3CD0084 12026530
	ds_read_b128 v[100:103], v10 offset:10880                  // 000000009610: D9FE2A80 6400000A
	v_mov_b32_e32 v42, 0                                       // 000000009618: 7E540280
	s_mov_b64 exec, s[80:81]                                   // 00000000961C: BEFE0150
	buffer_load_dword v42, v250, s[20:23], 0 idxen             // 000000009620: E0502000 80052AFA
	s_mov_b32 exec_lo, -1                                      // 000000009628: BEFE00C1
	s_mov_b32 exec_hi, -1                                      // 00000000962C: BEFF00C1
	v_mfma_f32_16x16x16_f16 v[132:135], v[50:51], a[54:55], v[132:135]// 000000009630: D3CD0084 16126D32
	v_mov_b32_dpp v127, v124 quad_perm:[3,3,3,3] row_mask:0xf bank_mask:0xf// 000000009638: 7EFE02FA FF00FF7C
	v_mov_b32_dpp v126, v124 quad_perm:[2,2,2,2] row_mask:0xf bank_mask:0xf// 000000009640: 7EFC02FA FF00AA7C
	v_mfma_f32_16x16x16_f16 v[132:135], v[52:53], a[58:59], v[132:135]// 000000009648: D3CD0084 16127534
	ds_read_b128 v[104:107], v10 offset:11392                  // 000000009650: D9FE2C80 6800000A
	v_mov_b32_e32 v43, 0                                       // 000000009658: 7E560280
	s_mov_b64 exec, s[80:81]                                   // 00000000965C: BEFE0150
	buffer_load_dword v43, v251, s[20:23], 0 idxen             // 000000009660: E0502000 80052BFB
	s_mov_b32 exec_lo, -1                                      // 000000009668: BEFE00C1
	s_mov_b32 exec_hi, -1                                      // 00000000966C: BEFF00C1
	v_mfma_f32_16x16x16_f16 v[132:135], v[54:55], a[62:63], v[132:135]// 000000009670: D3CD0084 16127D36
	v_mov_b32_dpp v125, v124 quad_perm:[1,1,1,1] row_mask:0xf bank_mask:0xf// 000000009678: 7EFA02FA FF00557C
	v_mov_b32_dpp v124, v124 quad_perm:[0,0,0,0] row_mask:0xf bank_mask:0xf// 000000009680: 7EF802FA FF00007C
	s_add_u32 s60, 64, s59                                     // 000000009688: 803C3BC0
	v_mfma_f32_16x16x16_f16 v[132:135], v[56:57], a[66:67], v[132:135]// 00000000968C: D3CD0084 16128538
	buffer_load_dword v9, s[24:27], 0 idxen lds                // 000000009694: E0512000 80060009
	v_mfma_f32_16x16x16_f16 v[132:135], v[58:59], a[70:71], v[132:135]// 00000000969C: D3CD0084 16128D3A
	s_cmp_lt_u32 s60, s58                                      // 0000000096A4: BF0A3A3C
	s_cselect_b32 s68, s68, 0                                  // 0000000096A8: 85448044
	s_cselect_b32 s100, s100, 0                                // 0000000096AC: 85648064
	s_cselect_b32 s69, s69, 0                                  // 0000000096B0: 85458045
	v_mfma_f32_16x16x16_f16 v[132:135], v[60:61], a[74:75], v[132:135]// 0000000096B4: D3CD0084 1612953C
	v_add_u32_e32 v1, s68, v1                                  // 0000000096BC: 68020244
	v_add_u32_e32 v2, s68, v2                                  // 0000000096C0: 68040444
	v_add_u32_e32 v3, s68, v3                                  // 0000000096C4: 68060644
	v_add_u32_e32 v4, s68, v4                                  // 0000000096C8: 68080844
	v_mfma_f32_16x16x16_f16 v[132:135], v[62:63], a[78:79], v[132:135]// 0000000096CC: D3CD0084 16129D3E
	v_add_u32_e32 v248, s100, v248                             // 0000000096D4: 69F1F064
	v_add_u32_e32 v249, s100, v249                             // 0000000096D8: 69F3F264
	v_add_u32_e32 v250, s100, v250                             // 0000000096DC: 69F5F464
	v_add_u32_e32 v251, s100, v251                             // 0000000096E0: 69F7F664
	v_mfma_f32_16x16x16_f16 v[132:135], v[64:65], a[82:83], v[132:135]// 0000000096E4: D3CD0084 1612A540
	s_mov_b32 m0, s79                                          // 0000000096EC: BEFC004F
	v_add_u32_e32 v9, s69, v9                                  // 0000000096F0: 68121245
	v_mfma_f32_16x16x16_f16 v[132:135], v[66:67], a[86:87], v[132:135]// 0000000096F4: D3CD0084 1612AD42
	s_cmp_ge_u32 s59, s73                                      // 0000000096FC: BF09493B
	s_cselect_b32 s66, s67, s66                                // 000000009700: 85424243
	v_mfma_f32_16x16x16_f16 v[132:135], v[68:69], a[90:91], v[132:135]// 000000009704: D3CD0084 1612B544
	s_addk_i32 s59, 0x10                                       // 00000000970C: B73B0010
	s_nop 0                                                    // 000000009710: BF800000
	s_cmp_lt_i32 s59, s58                                      // 000000009714: BF043A3B
	v_mfma_f32_16x16x16_f16 v[132:135], v[70:71], a[94:95], v[132:135]// 000000009718: D3CD0084 1612BD46
	s_cbranch_scc0 label_106E                                  // 000000009720: BF84FA1B
	s_branch label_1075                                        // 000000009724: BF82FA21

0000000000009728 <label_165E>:
	buffer_atomic_add_f32 v140, v7, s[32:35], 0 offen offset:256// 000000009728: E1341100 80088C07
	buffer_atomic_add_f32 v141, v8, s[32:35], 0 offen offset:256// 000000009730: E1341100 80088D08
	buffer_atomic_add_f32 v142, v7, s[32:35], 0 offen offset:384// 000000009738: E1341180 80088E07
	buffer_atomic_add_f32 v143, v8, s[32:35], 0 offen offset:384// 000000009740: E1341180 80088F08
	v_add_u32_e32 v7, s66, v7                                  // 000000009748: 680E0E42
	v_add_u32_e32 v8, s66, v8                                  // 00000000974C: 68101042
	v_lshrrev_b32_e32 v28, 5, v0                               // 000000009750: 20380085
	v_mul_i32_i24_e32 v25, 0x42, v28                           // 000000009754: 0C3238FF 00000042
	v_and_b32_e32 v28, 31, v0                                  // 00000000975C: 2638009F
	v_mul_i32_i24_e32 v29, 2, v28                              // 000000009760: 0C3A3882
	v_add_u32_e32 v25, v29, v25                                // 000000009764: 6832331D
	s_mul_i32 s60, s46, 0x420                                  // 000000009768: 923CFF2E 00000420
	v_add_u32_e32 v25, s60, v25                                // 000000009770: 6832323C
	v_lshlrev_b32_e32 v25, 2, v25                              // 000000009774: 24323282
	v_mul_f32_e32 v128, s47, v128                              // 000000009778: 0B01002F
	v_mul_f32_e32 v129, s47, v129                              // 00000000977C: 0B03022F
	v_mul_f32_e32 v130, s47, v130                              // 000000009780: 0B05042F
	v_mul_f32_e32 v131, s47, v131                              // 000000009784: 0B07062F
	v_mul_f32_e32 v132, s47, v132                              // 000000009788: 0B09082F
	v_mul_f32_e32 v133, s47, v133                              // 00000000978C: 0B0B0A2F
	v_mul_f32_e32 v134, s47, v134                              // 000000009790: 0B0D0C2F
	v_mul_f32_e32 v135, s47, v135                              // 000000009794: 0B0F0E2F
	ds_write_b64 v20, v[128:129] offset:24320                  // 000000009798: D89A5F00 00008014
	ds_write_b64 v20, v[130:131] offset:24832                  // 0000000097A0: D89A6100 00008214
	ds_write_b64 v20, v[132:133] offset:25344                  // 0000000097A8: D89A6300 00008414
	ds_write_b64 v20, v[134:135] offset:25856                  // 0000000097B0: D89A6500 00008614
	s_waitcnt lgkmcnt(0)                                       // 0000000097B8: BF8CC07F
	s_barrier                                                  // 0000000097BC: BF8A0000
	ds_read_b64 v[136:137], v19 offset:24320                   // 0000000097C0: D8EC5F00 88000013
	ds_read_b64 v[138:139], v19 offset:26368                   // 0000000097C8: D8EC6700 8A000013
	ds_read_b64 v[140:141], v19 offset:28416                   // 0000000097D0: D8EC6F00 8C000013
	ds_read_b64 v[142:143], v19 offset:30464                   // 0000000097D8: D8EC7700 8E000013
	s_waitcnt lgkmcnt(0)                                       // 0000000097E0: BF8CC07F
	s_barrier                                                  // 0000000097E4: BF8A0000
	buffer_atomic_add_f32 v136, v7, s[32:35], 0 offen          // 0000000097E8: E1341000 80088807
	buffer_atomic_add_f32 v137, v8, s[32:35], 0 offen          // 0000000097F0: E1341000 80088908
	buffer_atomic_add_f32 v138, v7, s[32:35], 0 offen offset:128// 0000000097F8: E1341080 80088A07
	buffer_atomic_add_f32 v139, v8, s[32:35], 0 offen offset:128// 000000009800: E1341080 80088B08
	buffer_atomic_add_f32 v140, v7, s[32:35], 0 offen offset:256// 000000009808: E1341100 80088C07
	buffer_atomic_add_f32 v141, v8, s[32:35], 0 offen offset:256// 000000009810: E1341100 80088D08
	buffer_atomic_add_f32 v142, v7, s[32:35], 0 offen offset:384// 000000009818: E1341180 80088E07
	buffer_atomic_add_f32 v143, v8, s[32:35], 0 offen offset:384// 000000009820: E1341180 80088F08
	v_lshrrev_b32_e32 v28, 4, v0                               // 000000009828: 20380084
	v_mul_i32_i24_e32 v24, 2, v28                              // 00000000982C: 0C303882
	v_and_b32_e32 v28, 15, v0                                  // 000000009830: 2638008F
	v_mul_i32_i24_e32 v29, 0x42, v28                           // 000000009834: 0C3A38FF 00000042
	v_add_u32_e32 v24, v29, v24                                // 00000000983C: 6830311D
	s_mul_i32 s60, s46, 0x420                                  // 000000009840: 923CFF2E 00000420
	v_add_u32_e32 v24, s60, v24                                // 000000009848: 6830303C
	v_lshlrev_b32_e32 v24, 2, v24                              // 00000000984C: 24303082
	v_and_b32_e32 v28, 15, v0                                  // 000000009850: 2638008F
	v_mov_b32_e32 v29, s50                                     // 000000009854: 7E3A0232
	v_lshrrev_b32_e32 v29, 3, v29                              // 000000009858: 203A3A83
	v_cmp_lt_u32_e64 s[80:81], v28, v29                        // 00000000985C: D0C90050 00023B1C
	v_accvgpr_read_b32 v28, a160                               // 000000009864: D3D8401C 180001A0
	v_accvgpr_read_b32 v29, a161                               // 00000000986C: D3D8401D 180001A1
	v_mul_f32_e32 v28, s47, v28                                // 000000009874: 0A38382F
	v_mul_f32_e32 v29, s47, v29                                // 000000009878: 0A3A3A2F
	v_cvt_pkrtz_f16_f32 v48, v28, v29                          // 00000000987C: D2960030 00023B1C
	v_accvgpr_read_b32 v28, a162                               // 000000009884: D3D8401C 180001A2
	v_accvgpr_read_b32 v29, a163                               // 00000000988C: D3D8401D 180001A3
	v_mul_f32_e32 v28, s47, v28                                // 000000009894: 0A38382F
	v_mul_f32_e32 v29, s47, v29                                // 000000009898: 0A3A3A2F
	v_cvt_pkrtz_f16_f32 v49, v28, v29                          // 00000000989C: D2960031 00023B1C
	v_accvgpr_read_b32 v28, a164                               // 0000000098A4: D3D8401C 180001A4
	v_accvgpr_read_b32 v29, a165                               // 0000000098AC: D3D8401D 180001A5
	v_mul_f32_e32 v28, s47, v28                                // 0000000098B4: 0A38382F
	v_mul_f32_e32 v29, s47, v29                                // 0000000098B8: 0A3A3A2F
	v_cvt_pkrtz_f16_f32 v50, v28, v29                          // 0000000098BC: D2960032 00023B1C
	v_accvgpr_read_b32 v28, a166                               // 0000000098C4: D3D8401C 180001A6
	v_accvgpr_read_b32 v29, a167                               // 0000000098CC: D3D8401D 180001A7
	v_mul_f32_e32 v28, s47, v28                                // 0000000098D4: 0A38382F
	v_mul_f32_e32 v29, s47, v29                                // 0000000098D8: 0A3A3A2F
	v_cvt_pkrtz_f16_f32 v51, v28, v29                          // 0000000098DC: D2960033 00023B1C
	v_accvgpr_read_b32 v28, a168                               // 0000000098E4: D3D8401C 180001A8
	v_accvgpr_read_b32 v29, a169                               // 0000000098EC: D3D8401D 180001A9
	v_mul_f32_e32 v28, s47, v28                                // 0000000098F4: 0A38382F
	v_mul_f32_e32 v29, s47, v29                                // 0000000098F8: 0A3A3A2F
	v_cvt_pkrtz_f16_f32 v52, v28, v29                          // 0000000098FC: D2960034 00023B1C
	v_accvgpr_read_b32 v28, a170                               // 000000009904: D3D8401C 180001AA
	v_accvgpr_read_b32 v29, a171                               // 00000000990C: D3D8401D 180001AB
	v_mul_f32_e32 v28, s47, v28                                // 000000009914: 0A38382F
	v_mul_f32_e32 v29, s47, v29                                // 000000009918: 0A3A3A2F
	v_cvt_pkrtz_f16_f32 v53, v28, v29                          // 00000000991C: D2960035 00023B1C
	v_accvgpr_read_b32 v28, a172                               // 000000009924: D3D8401C 180001AC
	v_accvgpr_read_b32 v29, a173                               // 00000000992C: D3D8401D 180001AD
	v_mul_f32_e32 v28, s47, v28                                // 000000009934: 0A38382F
	v_mul_f32_e32 v29, s47, v29                                // 000000009938: 0A3A3A2F
	v_cvt_pkrtz_f16_f32 v54, v28, v29                          // 00000000993C: D2960036 00023B1C
	v_accvgpr_read_b32 v28, a174                               // 000000009944: D3D8401C 180001AE
	v_accvgpr_read_b32 v29, a175                               // 00000000994C: D3D8401D 180001AF
	v_mul_f32_e32 v28, s47, v28                                // 000000009954: 0A38382F
	v_mul_f32_e32 v29, s47, v29                                // 000000009958: 0A3A3A2F
	v_cvt_pkrtz_f16_f32 v55, v28, v29                          // 00000000995C: D2960037 00023B1C
	v_accvgpr_read_b32 v28, a176                               // 000000009964: D3D8401C 180001B0
	v_accvgpr_read_b32 v29, a177                               // 00000000996C: D3D8401D 180001B1
	v_mul_f32_e32 v28, s47, v28                                // 000000009974: 0A38382F
	v_mul_f32_e32 v29, s47, v29                                // 000000009978: 0A3A3A2F
	v_cvt_pkrtz_f16_f32 v56, v28, v29                          // 00000000997C: D2960038 00023B1C
	v_accvgpr_read_b32 v28, a178                               // 000000009984: D3D8401C 180001B2
	v_accvgpr_read_b32 v29, a179                               // 00000000998C: D3D8401D 180001B3
	v_mul_f32_e32 v28, s47, v28                                // 000000009994: 0A38382F
	v_mul_f32_e32 v29, s47, v29                                // 000000009998: 0A3A3A2F
	v_cvt_pkrtz_f16_f32 v57, v28, v29                          // 00000000999C: D2960039 00023B1C
	v_accvgpr_read_b32 v28, a180                               // 0000000099A4: D3D8401C 180001B4
	v_accvgpr_read_b32 v29, a181                               // 0000000099AC: D3D8401D 180001B5
	v_mul_f32_e32 v28, s47, v28                                // 0000000099B4: 0A38382F
	v_mul_f32_e32 v29, s47, v29                                // 0000000099B8: 0A3A3A2F
	v_cvt_pkrtz_f16_f32 v58, v28, v29                          // 0000000099BC: D296003A 00023B1C
	v_accvgpr_read_b32 v28, a182                               // 0000000099C4: D3D8401C 180001B6
	v_accvgpr_read_b32 v29, a183                               // 0000000099CC: D3D8401D 180001B7
	v_mul_f32_e32 v28, s47, v28                                // 0000000099D4: 0A38382F
	v_mul_f32_e32 v29, s47, v29                                // 0000000099D8: 0A3A3A2F
	v_cvt_pkrtz_f16_f32 v59, v28, v29                          // 0000000099DC: D296003B 00023B1C
	v_accvgpr_read_b32 v28, a184                               // 0000000099E4: D3D8401C 180001B8
	v_accvgpr_read_b32 v29, a185                               // 0000000099EC: D3D8401D 180001B9
	v_mul_f32_e32 v28, s47, v28                                // 0000000099F4: 0A38382F
	v_mul_f32_e32 v29, s47, v29                                // 0000000099F8: 0A3A3A2F
	v_cvt_pkrtz_f16_f32 v60, v28, v29                          // 0000000099FC: D296003C 00023B1C
	v_accvgpr_read_b32 v28, a186                               // 000000009A04: D3D8401C 180001BA
	v_accvgpr_read_b32 v29, a187                               // 000000009A0C: D3D8401D 180001BB
	v_mul_f32_e32 v28, s47, v28                                // 000000009A14: 0A38382F
	v_mul_f32_e32 v29, s47, v29                                // 000000009A18: 0A3A3A2F
	v_cvt_pkrtz_f16_f32 v61, v28, v29                          // 000000009A1C: D296003D 00023B1C
	v_accvgpr_read_b32 v28, a188                               // 000000009A24: D3D8401C 180001BC
	v_accvgpr_read_b32 v29, a189                               // 000000009A2C: D3D8401D 180001BD
	v_mul_f32_e32 v28, s47, v28                                // 000000009A34: 0A38382F
	v_mul_f32_e32 v29, s47, v29                                // 000000009A38: 0A3A3A2F
	v_cvt_pkrtz_f16_f32 v62, v28, v29                          // 000000009A3C: D296003E 00023B1C
	v_accvgpr_read_b32 v28, a190                               // 000000009A44: D3D8401C 180001BE
	v_accvgpr_read_b32 v29, a191                               // 000000009A4C: D3D8401D 180001BF
	v_mul_f32_e32 v28, s47, v28                                // 000000009A54: 0A38382F
	v_mul_f32_e32 v29, s47, v29                                // 000000009A58: 0A3A3A2F
	v_cvt_pkrtz_f16_f32 v63, v28, v29                          // 000000009A5C: D296003F 00023B1C
	ds_write_b64 v25, v[48:49]                                 // 000000009A64: D89A0000 00003019
	ds_write_b64 v25, v[50:51] offset:528                      // 000000009A6C: D89A0210 00003219
	ds_write_b64 v25, v[52:53] offset:1056                     // 000000009A74: D89A0420 00003419
	ds_write_b64 v25, v[54:55] offset:1584                     // 000000009A7C: D89A0630 00003619
	ds_write_b64 v25, v[56:57] offset:2112                     // 000000009A84: D89A0840 00003819
	ds_write_b64 v25, v[58:59] offset:2640                     // 000000009A8C: D89A0A50 00003A19
	ds_write_b64 v25, v[60:61] offset:3168                     // 000000009A94: D89A0C60 00003C19
	ds_write_b64 v25, v[62:63] offset:3696                     // 000000009A9C: D89A0E70 00003E19
	s_waitcnt lgkmcnt(0)                                       // 000000009AA4: BF8CC07F
	s_barrier                                                  // 000000009AA8: BF8A0000
	ds_read_b64 v[48:49], v24                                  // 000000009AAC: D8EC0000 30000018
	ds_read_b64 v[50:51], v24 offset:128                       // 000000009AB4: D8EC0080 32000018
	ds_read_b64 v[52:53], v24 offset:32                        // 000000009ABC: D8EC0020 34000018
	ds_read_b64 v[54:55], v24 offset:160                       // 000000009AC4: D8EC00A0 36000018
	ds_read_b64 v[56:57], v24 offset:64                        // 000000009ACC: D8EC0040 38000018
	ds_read_b64 v[58:59], v24 offset:192                       // 000000009AD4: D8EC00C0 3A000018
	ds_read_b64 v[60:61], v24 offset:96                        // 000000009ADC: D8EC0060 3C000018
	ds_read_b64 v[62:63], v24 offset:224                       // 000000009AE4: D8EC00E0 3E000018
	s_waitcnt lgkmcnt(0)                                       // 000000009AEC: BF8CC07F
	s_mov_b32 s70, s52                                         // 000000009AF0: BEC60034
	s_mov_b64 exec, s[80:81]                                   // 000000009AF4: BEFE0150
	buffer_store_dwordx4 v[48:51], v5, s[36:39], 0 idxen       // 000000009AF8: E07C2000 80093005
	s_mov_b32 exec_lo, -1                                      // 000000009B00: BEFE00C1
	s_mov_b32 exec_hi, -1                                      // 000000009B04: BEFF00C1
	v_add_u32_e32 v5, s70, v5                                  // 000000009B08: 680A0A46
	s_mov_b64 exec, s[80:81]                                   // 000000009B0C: BEFE0150
	buffer_store_dwordx4 v[52:55], v5, s[36:39], 0 idxen       // 000000009B10: E07C2000 80093405
	s_mov_b32 exec_lo, -1                                      // 000000009B18: BEFE00C1
	s_mov_b32 exec_hi, -1                                      // 000000009B1C: BEFF00C1
	v_add_u32_e32 v5, s70, v5                                  // 000000009B20: 680A0A46
	s_mov_b64 exec, s[80:81]                                   // 000000009B24: BEFE0150
	buffer_store_dwordx4 v[56:59], v5, s[36:39], 0 idxen       // 000000009B28: E07C2000 80093805
	s_mov_b32 exec_lo, -1                                      // 000000009B30: BEFE00C1
	s_mov_b32 exec_hi, -1                                      // 000000009B34: BEFF00C1
	v_add_u32_e32 v5, s70, v5                                  // 000000009B38: 680A0A46
	s_mov_b64 exec, s[80:81]                                   // 000000009B3C: BEFE0150
	buffer_store_dwordx4 v[60:63], v5, s[36:39], 0 idxen       // 000000009B40: E07C2000 80093C05
	s_mov_b32 exec_lo, -1                                      // 000000009B48: BEFE00C1
	s_mov_b32 exec_hi, -1                                      // 000000009B4C: BEFF00C1
	v_add_u32_e32 v5, s70, v5                                  // 000000009B50: 680A0A46
	s_mul_i32 s60, 12, s70                                     // 000000009B54: 923C468C
	v_add_u32_e32 v5, s60, v5                                  // 000000009B58: 680A0A3C
	s_barrier                                                  // 000000009B5C: BF8A0000
	s_cmp_ge_i32 1, s72                                        // 000000009B60: BF034881
	s_cbranch_scc1 label_18F0                                  // 000000009B64: BF850182
	v_accvgpr_read_b32 v28, a192                               // 000000009B68: D3D8401C 180001C0
	v_accvgpr_read_b32 v29, a193                               // 000000009B70: D3D8401D 180001C1
	v_mul_f32_e32 v28, s47, v28                                // 000000009B78: 0A38382F
	v_mul_f32_e32 v29, s47, v29                                // 000000009B7C: 0A3A3A2F
	v_cvt_pkrtz_f16_f32 v64, v28, v29                          // 000000009B80: D2960040 00023B1C
	v_accvgpr_read_b32 v28, a194                               // 000000009B88: D3D8401C 180001C2
	v_accvgpr_read_b32 v29, a195                               // 000000009B90: D3D8401D 180001C3
	v_mul_f32_e32 v28, s47, v28                                // 000000009B98: 0A38382F
	v_mul_f32_e32 v29, s47, v29                                // 000000009B9C: 0A3A3A2F
	v_cvt_pkrtz_f16_f32 v65, v28, v29                          // 000000009BA0: D2960041 00023B1C
	v_accvgpr_read_b32 v28, a196                               // 000000009BA8: D3D8401C 180001C4
	v_accvgpr_read_b32 v29, a197                               // 000000009BB0: D3D8401D 180001C5
	v_mul_f32_e32 v28, s47, v28                                // 000000009BB8: 0A38382F
	v_mul_f32_e32 v29, s47, v29                                // 000000009BBC: 0A3A3A2F
	v_cvt_pkrtz_f16_f32 v66, v28, v29                          // 000000009BC0: D2960042 00023B1C
	v_accvgpr_read_b32 v28, a198                               // 000000009BC8: D3D8401C 180001C6
	v_accvgpr_read_b32 v29, a199                               // 000000009BD0: D3D8401D 180001C7
	v_mul_f32_e32 v28, s47, v28                                // 000000009BD8: 0A38382F
	v_mul_f32_e32 v29, s47, v29                                // 000000009BDC: 0A3A3A2F
	v_cvt_pkrtz_f16_f32 v67, v28, v29                          // 000000009BE0: D2960043 00023B1C
	v_accvgpr_read_b32 v28, a200                               // 000000009BE8: D3D8401C 180001C8
	v_accvgpr_read_b32 v29, a201                               // 000000009BF0: D3D8401D 180001C9
	v_mul_f32_e32 v28, s47, v28                                // 000000009BF8: 0A38382F
	v_mul_f32_e32 v29, s47, v29                                // 000000009BFC: 0A3A3A2F
	v_cvt_pkrtz_f16_f32 v68, v28, v29                          // 000000009C00: D2960044 00023B1C
	v_accvgpr_read_b32 v28, a202                               // 000000009C08: D3D8401C 180001CA
	v_accvgpr_read_b32 v29, a203                               // 000000009C10: D3D8401D 180001CB
	v_mul_f32_e32 v28, s47, v28                                // 000000009C18: 0A38382F
	v_mul_f32_e32 v29, s47, v29                                // 000000009C1C: 0A3A3A2F
	v_cvt_pkrtz_f16_f32 v69, v28, v29                          // 000000009C20: D2960045 00023B1C
	v_accvgpr_read_b32 v28, a204                               // 000000009C28: D3D8401C 180001CC
	v_accvgpr_read_b32 v29, a205                               // 000000009C30: D3D8401D 180001CD
	v_mul_f32_e32 v28, s47, v28                                // 000000009C38: 0A38382F
	v_mul_f32_e32 v29, s47, v29                                // 000000009C3C: 0A3A3A2F
	v_cvt_pkrtz_f16_f32 v70, v28, v29                          // 000000009C40: D2960046 00023B1C
	v_accvgpr_read_b32 v28, a206                               // 000000009C48: D3D8401C 180001CE
	v_accvgpr_read_b32 v29, a207                               // 000000009C50: D3D8401D 180001CF
	v_mul_f32_e32 v28, s47, v28                                // 000000009C58: 0A38382F
	v_mul_f32_e32 v29, s47, v29                                // 000000009C5C: 0A3A3A2F
	v_cvt_pkrtz_f16_f32 v71, v28, v29                          // 000000009C60: D2960047 00023B1C
	v_accvgpr_read_b32 v28, a208                               // 000000009C68: D3D8401C 180001D0
	v_accvgpr_read_b32 v29, a209                               // 000000009C70: D3D8401D 180001D1
	v_mul_f32_e32 v28, s47, v28                                // 000000009C78: 0A38382F
	v_mul_f32_e32 v29, s47, v29                                // 000000009C7C: 0A3A3A2F
	v_cvt_pkrtz_f16_f32 v72, v28, v29                          // 000000009C80: D2960048 00023B1C
	v_accvgpr_read_b32 v28, a210                               // 000000009C88: D3D8401C 180001D2
	v_accvgpr_read_b32 v29, a211                               // 000000009C90: D3D8401D 180001D3
	v_mul_f32_e32 v28, s47, v28                                // 000000009C98: 0A38382F
	v_mul_f32_e32 v29, s47, v29                                // 000000009C9C: 0A3A3A2F
	v_cvt_pkrtz_f16_f32 v73, v28, v29                          // 000000009CA0: D2960049 00023B1C
	v_accvgpr_read_b32 v28, a212                               // 000000009CA8: D3D8401C 180001D4
	v_accvgpr_read_b32 v29, a213                               // 000000009CB0: D3D8401D 180001D5
	v_mul_f32_e32 v28, s47, v28                                // 000000009CB8: 0A38382F
	v_mul_f32_e32 v29, s47, v29                                // 000000009CBC: 0A3A3A2F
	v_cvt_pkrtz_f16_f32 v74, v28, v29                          // 000000009CC0: D296004A 00023B1C
	v_accvgpr_read_b32 v28, a214                               // 000000009CC8: D3D8401C 180001D6
	v_accvgpr_read_b32 v29, a215                               // 000000009CD0: D3D8401D 180001D7
	v_mul_f32_e32 v28, s47, v28                                // 000000009CD8: 0A38382F
	v_mul_f32_e32 v29, s47, v29                                // 000000009CDC: 0A3A3A2F
	v_cvt_pkrtz_f16_f32 v75, v28, v29                          // 000000009CE0: D296004B 00023B1C
	v_accvgpr_read_b32 v28, a216                               // 000000009CE8: D3D8401C 180001D8
	v_accvgpr_read_b32 v29, a217                               // 000000009CF0: D3D8401D 180001D9
	v_mul_f32_e32 v28, s47, v28                                // 000000009CF8: 0A38382F
	v_mul_f32_e32 v29, s47, v29                                // 000000009CFC: 0A3A3A2F
	v_cvt_pkrtz_f16_f32 v76, v28, v29                          // 000000009D00: D296004C 00023B1C
	v_accvgpr_read_b32 v28, a218                               // 000000009D08: D3D8401C 180001DA
	v_accvgpr_read_b32 v29, a219                               // 000000009D10: D3D8401D 180001DB
	v_mul_f32_e32 v28, s47, v28                                // 000000009D18: 0A38382F
	v_mul_f32_e32 v29, s47, v29                                // 000000009D1C: 0A3A3A2F
	v_cvt_pkrtz_f16_f32 v77, v28, v29                          // 000000009D20: D296004D 00023B1C
	v_accvgpr_read_b32 v28, a220                               // 000000009D28: D3D8401C 180001DC
	v_accvgpr_read_b32 v29, a221                               // 000000009D30: D3D8401D 180001DD
	v_mul_f32_e32 v28, s47, v28                                // 000000009D38: 0A38382F
	v_mul_f32_e32 v29, s47, v29                                // 000000009D3C: 0A3A3A2F
	v_cvt_pkrtz_f16_f32 v78, v28, v29                          // 000000009D40: D296004E 00023B1C
	v_accvgpr_read_b32 v28, a222                               // 000000009D48: D3D8401C 180001DE
	v_accvgpr_read_b32 v29, a223                               // 000000009D50: D3D8401D 180001DF
	v_mul_f32_e32 v28, s47, v28                                // 000000009D58: 0A38382F
	v_mul_f32_e32 v29, s47, v29                                // 000000009D5C: 0A3A3A2F
	v_cvt_pkrtz_f16_f32 v79, v28, v29                          // 000000009D60: D296004F 00023B1C
	ds_write_b64 v25, v[64:65] offset:16896                    // 000000009D68: D89A4200 00004019
	ds_write_b64 v25, v[66:67] offset:17424                    // 000000009D70: D89A4410 00004219
	ds_write_b64 v25, v[68:69] offset:17952                    // 000000009D78: D89A4620 00004419
	ds_write_b64 v25, v[70:71] offset:18480                    // 000000009D80: D89A4830 00004619
	ds_write_b64 v25, v[72:73] offset:19008                    // 000000009D88: D89A4A40 00004819
	ds_write_b64 v25, v[74:75] offset:19536                    // 000000009D90: D89A4C50 00004A19
	ds_write_b64 v25, v[76:77] offset:20064                    // 000000009D98: D89A4E60 00004C19
	ds_write_b64 v25, v[78:79] offset:20592                    // 000000009DA0: D89A5070 00004E19
	s_waitcnt lgkmcnt(0)                                       // 000000009DA8: BF8CC07F
	s_barrier                                                  // 000000009DAC: BF8A0000
	ds_read_b64 v[64:65], v24 offset:16896                     // 000000009DB0: D8EC4200 40000018
	ds_read_b64 v[66:67], v24 offset:17024                     // 000000009DB8: D8EC4280 42000018
	ds_read_b64 v[68:69], v24 offset:16928                     // 000000009DC0: D8EC4220 44000018
	ds_read_b64 v[70:71], v24 offset:17056                     // 000000009DC8: D8EC42A0 46000018
	ds_read_b64 v[72:73], v24 offset:16960                     // 000000009DD0: D8EC4240 48000018
	ds_read_b64 v[74:75], v24 offset:17088                     // 000000009DD8: D8EC42C0 4A000018
	ds_read_b64 v[76:77], v24 offset:16992                     // 000000009DE0: D8EC4260 4C000018
	ds_read_b64 v[78:79], v24 offset:17120                     // 000000009DE8: D8EC42E0 4E000018
	s_waitcnt lgkmcnt(0)                                       // 000000009DF0: BF8CC07F
	s_mov_b32 s70, s52                                         // 000000009DF4: BEC60034
	s_mov_b64 exec, s[80:81]                                   // 000000009DF8: BEFE0150
	buffer_store_dwordx4 v[64:67], v5, s[36:39], 0 idxen       // 000000009DFC: E07C2000 80094005
	s_mov_b32 exec_lo, -1                                      // 000000009E04: BEFE00C1
	s_mov_b32 exec_hi, -1                                      // 000000009E08: BEFF00C1
	v_add_u32_e32 v5, s70, v5                                  // 000000009E0C: 680A0A46
	s_mov_b64 exec, s[80:81]                                   // 000000009E10: BEFE0150
	buffer_store_dwordx4 v[68:71], v5, s[36:39], 0 idxen       // 000000009E14: E07C2000 80094405
	s_mov_b32 exec_lo, -1                                      // 000000009E1C: BEFE00C1
	s_mov_b32 exec_hi, -1                                      // 000000009E20: BEFF00C1
	v_add_u32_e32 v5, s70, v5                                  // 000000009E24: 680A0A46
	s_mov_b64 exec, s[80:81]                                   // 000000009E28: BEFE0150
	buffer_store_dwordx4 v[72:75], v5, s[36:39], 0 idxen       // 000000009E2C: E07C2000 80094805
	s_mov_b32 exec_lo, -1                                      // 000000009E34: BEFE00C1
	s_mov_b32 exec_hi, -1                                      // 000000009E38: BEFF00C1
	v_add_u32_e32 v5, s70, v5                                  // 000000009E3C: 680A0A46
	s_mov_b64 exec, s[80:81]                                   // 000000009E40: BEFE0150
	buffer_store_dwordx4 v[76:79], v5, s[36:39], 0 idxen       // 000000009E44: E07C2000 80094C05
	s_mov_b32 exec_lo, -1                                      // 000000009E4C: BEFE00C1
	s_mov_b32 exec_hi, -1                                      // 000000009E50: BEFF00C1
	v_add_u32_e32 v5, s70, v5                                  // 000000009E54: 680A0A46
	s_mul_i32 s60, 12, s70                                     // 000000009E58: 923C468C
	v_add_u32_e32 v5, s60, v5                                  // 000000009E5C: 680A0A3C
	s_barrier                                                  // 000000009E60: BF8A0000
	s_cmp_ge_i32 2, s72                                        // 000000009E64: BF034882
	s_cbranch_scc1 label_18F0                                  // 000000009E68: BF8500C1
	v_accvgpr_read_b32 v28, a224                               // 000000009E6C: D3D8401C 180001E0
	v_accvgpr_read_b32 v29, a225                               // 000000009E74: D3D8401D 180001E1
	v_mul_f32_e32 v28, s47, v28                                // 000000009E7C: 0A38382F
	v_mul_f32_e32 v29, s47, v29                                // 000000009E80: 0A3A3A2F
	v_cvt_pkrtz_f16_f32 v80, v28, v29                          // 000000009E84: D2960050 00023B1C
	v_accvgpr_read_b32 v28, a226                               // 000000009E8C: D3D8401C 180001E2
	v_accvgpr_read_b32 v29, a227                               // 000000009E94: D3D8401D 180001E3
	v_mul_f32_e32 v28, s47, v28                                // 000000009E9C: 0A38382F
	v_mul_f32_e32 v29, s47, v29                                // 000000009EA0: 0A3A3A2F
	v_cvt_pkrtz_f16_f32 v81, v28, v29                          // 000000009EA4: D2960051 00023B1C
	v_accvgpr_read_b32 v28, a228                               // 000000009EAC: D3D8401C 180001E4
	v_accvgpr_read_b32 v29, a229                               // 000000009EB4: D3D8401D 180001E5
	v_mul_f32_e32 v28, s47, v28                                // 000000009EBC: 0A38382F
	v_mul_f32_e32 v29, s47, v29                                // 000000009EC0: 0A3A3A2F
	v_cvt_pkrtz_f16_f32 v82, v28, v29                          // 000000009EC4: D2960052 00023B1C
	v_accvgpr_read_b32 v28, a230                               // 000000009ECC: D3D8401C 180001E6
	v_accvgpr_read_b32 v29, a231                               // 000000009ED4: D3D8401D 180001E7
	v_mul_f32_e32 v28, s47, v28                                // 000000009EDC: 0A38382F
	v_mul_f32_e32 v29, s47, v29                                // 000000009EE0: 0A3A3A2F
	v_cvt_pkrtz_f16_f32 v83, v28, v29                          // 000000009EE4: D2960053 00023B1C
	v_accvgpr_read_b32 v28, a232                               // 000000009EEC: D3D8401C 180001E8
	v_accvgpr_read_b32 v29, a233                               // 000000009EF4: D3D8401D 180001E9
	v_mul_f32_e32 v28, s47, v28                                // 000000009EFC: 0A38382F
	v_mul_f32_e32 v29, s47, v29                                // 000000009F00: 0A3A3A2F
	v_cvt_pkrtz_f16_f32 v84, v28, v29                          // 000000009F04: D2960054 00023B1C
	v_accvgpr_read_b32 v28, a234                               // 000000009F0C: D3D8401C 180001EA
	v_accvgpr_read_b32 v29, a235                               // 000000009F14: D3D8401D 180001EB
	v_mul_f32_e32 v28, s47, v28                                // 000000009F1C: 0A38382F
	v_mul_f32_e32 v29, s47, v29                                // 000000009F20: 0A3A3A2F
	v_cvt_pkrtz_f16_f32 v85, v28, v29                          // 000000009F24: D2960055 00023B1C
	v_accvgpr_read_b32 v28, a236                               // 000000009F2C: D3D8401C 180001EC
	v_accvgpr_read_b32 v29, a237                               // 000000009F34: D3D8401D 180001ED
	v_mul_f32_e32 v28, s47, v28                                // 000000009F3C: 0A38382F
	v_mul_f32_e32 v29, s47, v29                                // 000000009F40: 0A3A3A2F
	v_cvt_pkrtz_f16_f32 v86, v28, v29                          // 000000009F44: D2960056 00023B1C
	v_accvgpr_read_b32 v28, a238                               // 000000009F4C: D3D8401C 180001EE
	v_accvgpr_read_b32 v29, a239                               // 000000009F54: D3D8401D 180001EF
	v_mul_f32_e32 v28, s47, v28                                // 000000009F5C: 0A38382F
	v_mul_f32_e32 v29, s47, v29                                // 000000009F60: 0A3A3A2F
	v_cvt_pkrtz_f16_f32 v87, v28, v29                          // 000000009F64: D2960057 00023B1C
	v_accvgpr_read_b32 v28, a240                               // 000000009F6C: D3D8401C 180001F0
	v_accvgpr_read_b32 v29, a241                               // 000000009F74: D3D8401D 180001F1
	v_mul_f32_e32 v28, s47, v28                                // 000000009F7C: 0A38382F
	v_mul_f32_e32 v29, s47, v29                                // 000000009F80: 0A3A3A2F
	v_cvt_pkrtz_f16_f32 v88, v28, v29                          // 000000009F84: D2960058 00023B1C
	v_accvgpr_read_b32 v28, a242                               // 000000009F8C: D3D8401C 180001F2
	v_accvgpr_read_b32 v29, a243                               // 000000009F94: D3D8401D 180001F3
	v_mul_f32_e32 v28, s47, v28                                // 000000009F9C: 0A38382F
	v_mul_f32_e32 v29, s47, v29                                // 000000009FA0: 0A3A3A2F
	v_cvt_pkrtz_f16_f32 v89, v28, v29                          // 000000009FA4: D2960059 00023B1C
	v_accvgpr_read_b32 v28, a244                               // 000000009FAC: D3D8401C 180001F4
	v_accvgpr_read_b32 v29, a245                               // 000000009FB4: D3D8401D 180001F5
	v_mul_f32_e32 v28, s47, v28                                // 000000009FBC: 0A38382F
	v_mul_f32_e32 v29, s47, v29                                // 000000009FC0: 0A3A3A2F
	v_cvt_pkrtz_f16_f32 v90, v28, v29                          // 000000009FC4: D296005A 00023B1C
	v_accvgpr_read_b32 v28, a246                               // 000000009FCC: D3D8401C 180001F6
	v_accvgpr_read_b32 v29, a247                               // 000000009FD4: D3D8401D 180001F7
	v_mul_f32_e32 v28, s47, v28                                // 000000009FDC: 0A38382F
	v_mul_f32_e32 v29, s47, v29                                // 000000009FE0: 0A3A3A2F
	v_cvt_pkrtz_f16_f32 v91, v28, v29                          // 000000009FE4: D296005B 00023B1C
	v_accvgpr_read_b32 v28, a248                               // 000000009FEC: D3D8401C 180001F8
	v_accvgpr_read_b32 v29, a249                               // 000000009FF4: D3D8401D 180001F9
	v_mul_f32_e32 v28, s47, v28                                // 000000009FFC: 0A38382F
	v_mul_f32_e32 v29, s47, v29                                // 00000000A000: 0A3A3A2F
	v_cvt_pkrtz_f16_f32 v92, v28, v29                          // 00000000A004: D296005C 00023B1C
	v_accvgpr_read_b32 v28, a250                               // 00000000A00C: D3D8401C 180001FA
	v_accvgpr_read_b32 v29, a251                               // 00000000A014: D3D8401D 180001FB
	v_mul_f32_e32 v28, s47, v28                                // 00000000A01C: 0A38382F
	v_mul_f32_e32 v29, s47, v29                                // 00000000A020: 0A3A3A2F
	v_cvt_pkrtz_f16_f32 v93, v28, v29                          // 00000000A024: D296005D 00023B1C
	v_accvgpr_read_b32 v28, a252                               // 00000000A02C: D3D8401C 180001FC
	v_accvgpr_read_b32 v29, a253                               // 00000000A034: D3D8401D 180001FD
	v_mul_f32_e32 v28, s47, v28                                // 00000000A03C: 0A38382F
	v_mul_f32_e32 v29, s47, v29                                // 00000000A040: 0A3A3A2F
	v_cvt_pkrtz_f16_f32 v94, v28, v29                          // 00000000A044: D296005E 00023B1C
	v_accvgpr_read_b32 v28, a254                               // 00000000A04C: D3D8401C 180001FE
	v_accvgpr_read_b32 v29, a255                               // 00000000A054: D3D8401D 180001FF
	v_mul_f32_e32 v28, s47, v28                                // 00000000A05C: 0A38382F
	v_mul_f32_e32 v29, s47, v29                                // 00000000A060: 0A3A3A2F
	v_cvt_pkrtz_f16_f32 v95, v28, v29                          // 00000000A064: D296005F 00023B1C
	ds_write_b64 v25, v[80:81] offset:33792                    // 00000000A06C: D89A8400 00005019
	ds_write_b64 v25, v[82:83] offset:34320                    // 00000000A074: D89A8610 00005219
	ds_write_b64 v25, v[84:85] offset:34848                    // 00000000A07C: D89A8820 00005419
	ds_write_b64 v25, v[86:87] offset:35376                    // 00000000A084: D89A8A30 00005619
	ds_write_b64 v25, v[88:89] offset:35904                    // 00000000A08C: D89A8C40 00005819
	ds_write_b64 v25, v[90:91] offset:36432                    // 00000000A094: D89A8E50 00005A19
	ds_write_b64 v25, v[92:93] offset:36960                    // 00000000A09C: D89A9060 00005C19
	ds_write_b64 v25, v[94:95] offset:37488                    // 00000000A0A4: D89A9270 00005E19
	s_waitcnt lgkmcnt(0)                                       // 00000000A0AC: BF8CC07F
	s_barrier                                                  // 00000000A0B0: BF8A0000
	ds_read_b64 v[80:81], v24 offset:33792                     // 00000000A0B4: D8EC8400 50000018
	ds_read_b64 v[82:83], v24 offset:33920                     // 00000000A0BC: D8EC8480 52000018
	ds_read_b64 v[84:85], v24 offset:33824                     // 00000000A0C4: D8EC8420 54000018
	ds_read_b64 v[86:87], v24 offset:33952                     // 00000000A0CC: D8EC84A0 56000018
	ds_read_b64 v[88:89], v24 offset:33856                     // 00000000A0D4: D8EC8440 58000018
	ds_read_b64 v[90:91], v24 offset:33984                     // 00000000A0DC: D8EC84C0 5A000018
	ds_read_b64 v[92:93], v24 offset:33888                     // 00000000A0E4: D8EC8460 5C000018
	ds_read_b64 v[94:95], v24 offset:34016                     // 00000000A0EC: D8EC84E0 5E000018
	s_waitcnt lgkmcnt(0)                                       // 00000000A0F4: BF8CC07F
	s_mov_b32 s70, s52                                         // 00000000A0F8: BEC60034
	s_mov_b64 exec, s[80:81]                                   // 00000000A0FC: BEFE0150
	buffer_store_dwordx4 v[80:83], v5, s[36:39], 0 idxen       // 00000000A100: E07C2000 80095005
	s_mov_b32 exec_lo, -1                                      // 00000000A108: BEFE00C1
	s_mov_b32 exec_hi, -1                                      // 00000000A10C: BEFF00C1
	v_add_u32_e32 v5, s70, v5                                  // 00000000A110: 680A0A46
	s_mov_b64 exec, s[80:81]                                   // 00000000A114: BEFE0150
	buffer_store_dwordx4 v[84:87], v5, s[36:39], 0 idxen       // 00000000A118: E07C2000 80095405
	s_mov_b32 exec_lo, -1                                      // 00000000A120: BEFE00C1
	s_mov_b32 exec_hi, -1                                      // 00000000A124: BEFF00C1
	v_add_u32_e32 v5, s70, v5                                  // 00000000A128: 680A0A46
	s_mov_b64 exec, s[80:81]                                   // 00000000A12C: BEFE0150
	buffer_store_dwordx4 v[88:91], v5, s[36:39], 0 idxen       // 00000000A130: E07C2000 80095805
	s_mov_b32 exec_lo, -1                                      // 00000000A138: BEFE00C1
	s_mov_b32 exec_hi, -1                                      // 00000000A13C: BEFF00C1
	v_add_u32_e32 v5, s70, v5                                  // 00000000A140: 680A0A46
	s_mov_b64 exec, s[80:81]                                   // 00000000A144: BEFE0150
	buffer_store_dwordx4 v[92:95], v5, s[36:39], 0 idxen       // 00000000A148: E07C2000 80095C05
	s_mov_b32 exec_lo, -1                                      // 00000000A150: BEFE00C1
	s_mov_b32 exec_hi, -1                                      // 00000000A154: BEFF00C1
	v_add_u32_e32 v5, s70, v5                                  // 00000000A158: 680A0A46
	s_mul_i32 s60, 12, s70                                     // 00000000A15C: 923C468C
	v_add_u32_e32 v5, s60, v5                                  // 00000000A160: 680A0A3C
	s_barrier                                                  // 00000000A164: BF8A0000
	s_cmp_ge_i32 3, s72                                        // 00000000A168: BF034883
	s_cbranch_scc1 label_18F0                                  // 00000000A16C: BF850000

000000000000a170 <label_18F0>:
	v_mov_b32_e32 v28, v152                                    // 00000000A170: 7E380398
	v_mov_b32_e32 v29, v153                                    // 00000000A174: 7E3A0399
	v_cvt_pkrtz_f16_f32 v152, v28, v29                         // 00000000A178: D2960098 00023B1C
	v_mov_b32_e32 v28, v154                                    // 00000000A180: 7E38039A
	v_mov_b32_e32 v29, v155                                    // 00000000A184: 7E3A039B
	v_cvt_pkrtz_f16_f32 v153, v28, v29                         // 00000000A188: D2960099 00023B1C
	v_mov_b32_e32 v28, v156                                    // 00000000A190: 7E38039C
	v_mov_b32_e32 v29, v157                                    // 00000000A194: 7E3A039D
	v_cvt_pkrtz_f16_f32 v154, v28, v29                         // 00000000A198: D296009A 00023B1C
	v_mov_b32_e32 v28, v158                                    // 00000000A1A0: 7E38039E
	v_mov_b32_e32 v29, v159                                    // 00000000A1A4: 7E3A039F
	v_cvt_pkrtz_f16_f32 v155, v28, v29                         // 00000000A1A8: D296009B 00023B1C
	v_mov_b32_e32 v28, v160                                    // 00000000A1B0: 7E3803A0
	v_mov_b32_e32 v29, v161                                    // 00000000A1B4: 7E3A03A1
	v_cvt_pkrtz_f16_f32 v156, v28, v29                         // 00000000A1B8: D296009C 00023B1C
	v_mov_b32_e32 v28, v162                                    // 00000000A1C0: 7E3803A2
	v_mov_b32_e32 v29, v163                                    // 00000000A1C4: 7E3A03A3
	v_cvt_pkrtz_f16_f32 v157, v28, v29                         // 00000000A1C8: D296009D 00023B1C
	v_mov_b32_e32 v28, v164                                    // 00000000A1D0: 7E3803A4
	v_mov_b32_e32 v29, v165                                    // 00000000A1D4: 7E3A03A5
	v_cvt_pkrtz_f16_f32 v158, v28, v29                         // 00000000A1D8: D296009E 00023B1C
	v_mov_b32_e32 v28, v166                                    // 00000000A1E0: 7E3803A6
	v_mov_b32_e32 v29, v167                                    // 00000000A1E4: 7E3A03A7
	v_cvt_pkrtz_f16_f32 v159, v28, v29                         // 00000000A1E8: D296009F 00023B1C
	v_mov_b32_e32 v28, v168                                    // 00000000A1F0: 7E3803A8
	v_mov_b32_e32 v29, v169                                    // 00000000A1F4: 7E3A03A9
	v_cvt_pkrtz_f16_f32 v160, v28, v29                         // 00000000A1F8: D29600A0 00023B1C
	v_mov_b32_e32 v28, v170                                    // 00000000A200: 7E3803AA
	v_mov_b32_e32 v29, v171                                    // 00000000A204: 7E3A03AB
	v_cvt_pkrtz_f16_f32 v161, v28, v29                         // 00000000A208: D29600A1 00023B1C
	v_mov_b32_e32 v28, v172                                    // 00000000A210: 7E3803AC
	v_mov_b32_e32 v29, v173                                    // 00000000A214: 7E3A03AD
	v_cvt_pkrtz_f16_f32 v162, v28, v29                         // 00000000A218: D29600A2 00023B1C
	v_mov_b32_e32 v28, v174                                    // 00000000A220: 7E3803AE
	v_mov_b32_e32 v29, v175                                    // 00000000A224: 7E3A03AF
	v_cvt_pkrtz_f16_f32 v163, v28, v29                         // 00000000A228: D29600A3 00023B1C
	v_mov_b32_e32 v28, v176                                    // 00000000A230: 7E3803B0
	v_mov_b32_e32 v29, v177                                    // 00000000A234: 7E3A03B1
	v_cvt_pkrtz_f16_f32 v164, v28, v29                         // 00000000A238: D29600A4 00023B1C
	v_mov_b32_e32 v28, v178                                    // 00000000A240: 7E3803B2
	v_mov_b32_e32 v29, v179                                    // 00000000A244: 7E3A03B3
	v_cvt_pkrtz_f16_f32 v165, v28, v29                         // 00000000A248: D29600A5 00023B1C
	v_mov_b32_e32 v28, v180                                    // 00000000A250: 7E3803B4
	v_mov_b32_e32 v29, v181                                    // 00000000A254: 7E3A03B5
	v_cvt_pkrtz_f16_f32 v166, v28, v29                         // 00000000A258: D29600A6 00023B1C
	v_mov_b32_e32 v28, v182                                    // 00000000A260: 7E3803B6
	v_mov_b32_e32 v29, v183                                    // 00000000A264: 7E3A03B7
	v_cvt_pkrtz_f16_f32 v167, v28, v29                         // 00000000A268: D29600A7 00023B1C
	ds_write_b64 v25, v[152:153]                               // 00000000A270: D89A0000 00009819
	ds_write_b64 v25, v[154:155] offset:528                    // 00000000A278: D89A0210 00009A19
	ds_write_b64 v25, v[156:157] offset:1056                   // 00000000A280: D89A0420 00009C19
	ds_write_b64 v25, v[158:159] offset:1584                   // 00000000A288: D89A0630 00009E19
	ds_write_b64 v25, v[160:161] offset:2112                   // 00000000A290: D89A0840 0000A019
	ds_write_b64 v25, v[162:163] offset:2640                   // 00000000A298: D89A0A50 0000A219
	ds_write_b64 v25, v[164:165] offset:3168                   // 00000000A2A0: D89A0C60 0000A419
	ds_write_b64 v25, v[166:167] offset:3696                   // 00000000A2A8: D89A0E70 0000A619
	s_waitcnt lgkmcnt(0)                                       // 00000000A2B0: BF8CC07F
	s_barrier                                                  // 00000000A2B4: BF8A0000
	ds_read_b64 v[152:153], v24                                // 00000000A2B8: D8EC0000 98000018
	ds_read_b64 v[154:155], v24 offset:128                     // 00000000A2C0: D8EC0080 9A000018
	ds_read_b64 v[156:157], v24 offset:32                      // 00000000A2C8: D8EC0020 9C000018
	ds_read_b64 v[158:159], v24 offset:160                     // 00000000A2D0: D8EC00A0 9E000018
	ds_read_b64 v[160:161], v24 offset:64                      // 00000000A2D8: D8EC0040 A0000018
	ds_read_b64 v[162:163], v24 offset:192                     // 00000000A2E0: D8EC00C0 A2000018
	ds_read_b64 v[164:165], v24 offset:96                      // 00000000A2E8: D8EC0060 A4000018
	ds_read_b64 v[166:167], v24 offset:224                     // 00000000A2F0: D8EC00E0 A6000018
	s_waitcnt lgkmcnt(0)                                       // 00000000A2F8: BF8CC07F
	s_mov_b32 s70, s53                                         // 00000000A2FC: BEC60035
	s_mov_b64 exec, s[80:81]                                   // 00000000A300: BEFE0150
	buffer_store_dwordx4 v[152:155], v6, s[40:43], 0 idxen     // 00000000A304: E07C2000 800A9806
	s_mov_b32 exec_lo, -1                                      // 00000000A30C: BEFE00C1
	s_mov_b32 exec_hi, -1                                      // 00000000A310: BEFF00C1
	v_add_u32_e32 v6, s70, v6                                  // 00000000A314: 680C0C46
	s_mov_b64 exec, s[80:81]                                   // 00000000A318: BEFE0150
	buffer_store_dwordx4 v[156:159], v6, s[40:43], 0 idxen     // 00000000A31C: E07C2000 800A9C06
	s_mov_b32 exec_lo, -1                                      // 00000000A324: BEFE00C1
	s_mov_b32 exec_hi, -1                                      // 00000000A328: BEFF00C1
	v_add_u32_e32 v6, s70, v6                                  // 00000000A32C: 680C0C46
	s_mov_b64 exec, s[80:81]                                   // 00000000A330: BEFE0150
	buffer_store_dwordx4 v[160:163], v6, s[40:43], 0 idxen     // 00000000A334: E07C2000 800AA006
	s_mov_b32 exec_lo, -1                                      // 00000000A33C: BEFE00C1
	s_mov_b32 exec_hi, -1                                      // 00000000A340: BEFF00C1
	v_add_u32_e32 v6, s70, v6                                  // 00000000A344: 680C0C46
	s_mov_b64 exec, s[80:81]                                   // 00000000A348: BEFE0150
	buffer_store_dwordx4 v[164:167], v6, s[40:43], 0 idxen     // 00000000A34C: E07C2000 800AA406
	s_mov_b32 exec_lo, -1                                      // 00000000A354: BEFE00C1
	s_mov_b32 exec_hi, -1                                      // 00000000A358: BEFF00C1
	v_add_u32_e32 v6, s70, v6                                  // 00000000A35C: 680C0C46
	s_mul_i32 s60, 12, s70                                     // 00000000A360: 923C468C
	v_add_u32_e32 v6, s60, v6                                  // 00000000A364: 680C0C3C
	s_cmp_ge_i32 1, s72                                        // 00000000A368: BF034881
	s_cbranch_scc1 label_1A70                                  // 00000000A36C: BF850100
	v_mov_b32_e32 v28, v184                                    // 00000000A370: 7E3803B8
	v_mov_b32_e32 v29, v185                                    // 00000000A374: 7E3A03B9
	v_cvt_pkrtz_f16_f32 v168, v28, v29                         // 00000000A378: D29600A8 00023B1C
	v_mov_b32_e32 v28, v186                                    // 00000000A380: 7E3803BA
	v_mov_b32_e32 v29, v187                                    // 00000000A384: 7E3A03BB
	v_cvt_pkrtz_f16_f32 v169, v28, v29                         // 00000000A388: D29600A9 00023B1C
	v_mov_b32_e32 v28, v188                                    // 00000000A390: 7E3803BC
	v_mov_b32_e32 v29, v189                                    // 00000000A394: 7E3A03BD
	v_cvt_pkrtz_f16_f32 v170, v28, v29                         // 00000000A398: D29600AA 00023B1C
	v_mov_b32_e32 v28, v190                                    // 00000000A3A0: 7E3803BE
	v_mov_b32_e32 v29, v191                                    // 00000000A3A4: 7E3A03BF
	v_cvt_pkrtz_f16_f32 v171, v28, v29                         // 00000000A3A8: D29600AB 00023B1C
	v_mov_b32_e32 v28, v192                                    // 00000000A3B0: 7E3803C0
	v_mov_b32_e32 v29, v193                                    // 00000000A3B4: 7E3A03C1
	v_cvt_pkrtz_f16_f32 v172, v28, v29                         // 00000000A3B8: D29600AC 00023B1C
	v_mov_b32_e32 v28, v194                                    // 00000000A3C0: 7E3803C2
	v_mov_b32_e32 v29, v195                                    // 00000000A3C4: 7E3A03C3
	v_cvt_pkrtz_f16_f32 v173, v28, v29                         // 00000000A3C8: D29600AD 00023B1C
	v_mov_b32_e32 v28, v196                                    // 00000000A3D0: 7E3803C4
	v_mov_b32_e32 v29, v197                                    // 00000000A3D4: 7E3A03C5
	v_cvt_pkrtz_f16_f32 v174, v28, v29                         // 00000000A3D8: D29600AE 00023B1C
	v_mov_b32_e32 v28, v198                                    // 00000000A3E0: 7E3803C6
	v_mov_b32_e32 v29, v199                                    // 00000000A3E4: 7E3A03C7
	v_cvt_pkrtz_f16_f32 v175, v28, v29                         // 00000000A3E8: D29600AF 00023B1C
	v_mov_b32_e32 v28, v200                                    // 00000000A3F0: 7E3803C8
	v_mov_b32_e32 v29, v201                                    // 00000000A3F4: 7E3A03C9
	v_cvt_pkrtz_f16_f32 v176, v28, v29                         // 00000000A3F8: D29600B0 00023B1C
	v_mov_b32_e32 v28, v202                                    // 00000000A400: 7E3803CA
	v_mov_b32_e32 v29, v203                                    // 00000000A404: 7E3A03CB
	v_cvt_pkrtz_f16_f32 v177, v28, v29                         // 00000000A408: D29600B1 00023B1C
	v_mov_b32_e32 v28, v204                                    // 00000000A410: 7E3803CC
	v_mov_b32_e32 v29, v205                                    // 00000000A414: 7E3A03CD
	v_cvt_pkrtz_f16_f32 v178, v28, v29                         // 00000000A418: D29600B2 00023B1C
	v_mov_b32_e32 v28, v206                                    // 00000000A420: 7E3803CE
	v_mov_b32_e32 v29, v207                                    // 00000000A424: 7E3A03CF
	v_cvt_pkrtz_f16_f32 v179, v28, v29                         // 00000000A428: D29600B3 00023B1C
	v_mov_b32_e32 v28, v208                                    // 00000000A430: 7E3803D0
	v_mov_b32_e32 v29, v209                                    // 00000000A434: 7E3A03D1
	v_cvt_pkrtz_f16_f32 v180, v28, v29                         // 00000000A438: D29600B4 00023B1C
	v_mov_b32_e32 v28, v210                                    // 00000000A440: 7E3803D2
	v_mov_b32_e32 v29, v211                                    // 00000000A444: 7E3A03D3
	v_cvt_pkrtz_f16_f32 v181, v28, v29                         // 00000000A448: D29600B5 00023B1C
	v_mov_b32_e32 v28, v212                                    // 00000000A450: 7E3803D4
	v_mov_b32_e32 v29, v213                                    // 00000000A454: 7E3A03D5
	v_cvt_pkrtz_f16_f32 v182, v28, v29                         // 00000000A458: D29600B6 00023B1C
	v_mov_b32_e32 v28, v214                                    // 00000000A460: 7E3803D6
	v_mov_b32_e32 v29, v215                                    // 00000000A464: 7E3A03D7
	v_cvt_pkrtz_f16_f32 v183, v28, v29                         // 00000000A468: D29600B7 00023B1C
	ds_write_b64 v25, v[168:169] offset:16896                  // 00000000A470: D89A4200 0000A819
	ds_write_b64 v25, v[170:171] offset:17424                  // 00000000A478: D89A4410 0000AA19
	ds_write_b64 v25, v[172:173] offset:17952                  // 00000000A480: D89A4620 0000AC19
	ds_write_b64 v25, v[174:175] offset:18480                  // 00000000A488: D89A4830 0000AE19
	ds_write_b64 v25, v[176:177] offset:19008                  // 00000000A490: D89A4A40 0000B019
	ds_write_b64 v25, v[178:179] offset:19536                  // 00000000A498: D89A4C50 0000B219
	ds_write_b64 v25, v[180:181] offset:20064                  // 00000000A4A0: D89A4E60 0000B419
	ds_write_b64 v25, v[182:183] offset:20592                  // 00000000A4A8: D89A5070 0000B619
	s_waitcnt lgkmcnt(0)                                       // 00000000A4B0: BF8CC07F
	s_barrier                                                  // 00000000A4B4: BF8A0000
	ds_read_b64 v[168:169], v24 offset:16896                   // 00000000A4B8: D8EC4200 A8000018
	ds_read_b64 v[170:171], v24 offset:17024                   // 00000000A4C0: D8EC4280 AA000018
	ds_read_b64 v[172:173], v24 offset:16928                   // 00000000A4C8: D8EC4220 AC000018
	ds_read_b64 v[174:175], v24 offset:17056                   // 00000000A4D0: D8EC42A0 AE000018
	ds_read_b64 v[176:177], v24 offset:16960                   // 00000000A4D8: D8EC4240 B0000018
	ds_read_b64 v[178:179], v24 offset:17088                   // 00000000A4E0: D8EC42C0 B2000018
	ds_read_b64 v[180:181], v24 offset:16992                   // 00000000A4E8: D8EC4260 B4000018
	ds_read_b64 v[182:183], v24 offset:17120                   // 00000000A4F0: D8EC42E0 B6000018
	s_waitcnt lgkmcnt(0)                                       // 00000000A4F8: BF8CC07F
	s_mov_b32 s70, s53                                         // 00000000A4FC: BEC60035
	s_mov_b64 exec, s[80:81]                                   // 00000000A500: BEFE0150
	buffer_store_dwordx4 v[168:171], v6, s[40:43], 0 idxen     // 00000000A504: E07C2000 800AA806
	s_mov_b32 exec_lo, -1                                      // 00000000A50C: BEFE00C1
	s_mov_b32 exec_hi, -1                                      // 00000000A510: BEFF00C1
	v_add_u32_e32 v6, s70, v6                                  // 00000000A514: 680C0C46
	s_mov_b64 exec, s[80:81]                                   // 00000000A518: BEFE0150
	buffer_store_dwordx4 v[172:175], v6, s[40:43], 0 idxen     // 00000000A51C: E07C2000 800AAC06
	s_mov_b32 exec_lo, -1                                      // 00000000A524: BEFE00C1
	s_mov_b32 exec_hi, -1                                      // 00000000A528: BEFF00C1
	v_add_u32_e32 v6, s70, v6                                  // 00000000A52C: 680C0C46
	s_mov_b64 exec, s[80:81]                                   // 00000000A530: BEFE0150
	buffer_store_dwordx4 v[176:179], v6, s[40:43], 0 idxen     // 00000000A534: E07C2000 800AB006
	s_mov_b32 exec_lo, -1                                      // 00000000A53C: BEFE00C1
	s_mov_b32 exec_hi, -1                                      // 00000000A540: BEFF00C1
	v_add_u32_e32 v6, s70, v6                                  // 00000000A544: 680C0C46
	s_mov_b64 exec, s[80:81]                                   // 00000000A548: BEFE0150
	buffer_store_dwordx4 v[180:183], v6, s[40:43], 0 idxen     // 00000000A54C: E07C2000 800AB406
	s_mov_b32 exec_lo, -1                                      // 00000000A554: BEFE00C1
	s_mov_b32 exec_hi, -1                                      // 00000000A558: BEFF00C1
	v_add_u32_e32 v6, s70, v6                                  // 00000000A55C: 680C0C46
	s_mul_i32 s60, 12, s70                                     // 00000000A560: 923C468C
	v_add_u32_e32 v6, s60, v6                                  // 00000000A564: 680C0C3C
	s_cmp_ge_i32 2, s72                                        // 00000000A568: BF034882
	s_cbranch_scc1 label_1A70                                  // 00000000A56C: BF850080
	v_mov_b32_e32 v28, v216                                    // 00000000A570: 7E3803D8
	v_mov_b32_e32 v29, v217                                    // 00000000A574: 7E3A03D9
	v_cvt_pkrtz_f16_f32 v184, v28, v29                         // 00000000A578: D29600B8 00023B1C
	v_mov_b32_e32 v28, v218                                    // 00000000A580: 7E3803DA
	v_mov_b32_e32 v29, v219                                    // 00000000A584: 7E3A03DB
	v_cvt_pkrtz_f16_f32 v185, v28, v29                         // 00000000A588: D29600B9 00023B1C
	v_mov_b32_e32 v28, v220                                    // 00000000A590: 7E3803DC
	v_mov_b32_e32 v29, v221                                    // 00000000A594: 7E3A03DD
	v_cvt_pkrtz_f16_f32 v186, v28, v29                         // 00000000A598: D29600BA 00023B1C
	v_mov_b32_e32 v28, v222                                    // 00000000A5A0: 7E3803DE
	v_mov_b32_e32 v29, v223                                    // 00000000A5A4: 7E3A03DF
	v_cvt_pkrtz_f16_f32 v187, v28, v29                         // 00000000A5A8: D29600BB 00023B1C
	v_mov_b32_e32 v28, v224                                    // 00000000A5B0: 7E3803E0
	v_mov_b32_e32 v29, v225                                    // 00000000A5B4: 7E3A03E1
	v_cvt_pkrtz_f16_f32 v188, v28, v29                         // 00000000A5B8: D29600BC 00023B1C
	v_mov_b32_e32 v28, v226                                    // 00000000A5C0: 7E3803E2
	v_mov_b32_e32 v29, v227                                    // 00000000A5C4: 7E3A03E3
	v_cvt_pkrtz_f16_f32 v189, v28, v29                         // 00000000A5C8: D29600BD 00023B1C
	v_mov_b32_e32 v28, v228                                    // 00000000A5D0: 7E3803E4
	v_mov_b32_e32 v29, v229                                    // 00000000A5D4: 7E3A03E5
	v_cvt_pkrtz_f16_f32 v190, v28, v29                         // 00000000A5D8: D29600BE 00023B1C
	v_mov_b32_e32 v28, v230                                    // 00000000A5E0: 7E3803E6
	v_mov_b32_e32 v29, v231                                    // 00000000A5E4: 7E3A03E7
	v_cvt_pkrtz_f16_f32 v191, v28, v29                         // 00000000A5E8: D29600BF 00023B1C
	v_mov_b32_e32 v28, v232                                    // 00000000A5F0: 7E3803E8
	v_mov_b32_e32 v29, v233                                    // 00000000A5F4: 7E3A03E9
	v_cvt_pkrtz_f16_f32 v192, v28, v29                         // 00000000A5F8: D29600C0 00023B1C
	v_mov_b32_e32 v28, v234                                    // 00000000A600: 7E3803EA
	v_mov_b32_e32 v29, v235                                    // 00000000A604: 7E3A03EB
	v_cvt_pkrtz_f16_f32 v193, v28, v29                         // 00000000A608: D29600C1 00023B1C
	v_mov_b32_e32 v28, v236                                    // 00000000A610: 7E3803EC
	v_mov_b32_e32 v29, v237                                    // 00000000A614: 7E3A03ED
	v_cvt_pkrtz_f16_f32 v194, v28, v29                         // 00000000A618: D29600C2 00023B1C
	v_mov_b32_e32 v28, v238                                    // 00000000A620: 7E3803EE
	v_mov_b32_e32 v29, v239                                    // 00000000A624: 7E3A03EF
	v_cvt_pkrtz_f16_f32 v195, v28, v29                         // 00000000A628: D29600C3 00023B1C
	v_mov_b32_e32 v28, v240                                    // 00000000A630: 7E3803F0
	v_mov_b32_e32 v29, v241                                    // 00000000A634: 7E3A03F1
	v_cvt_pkrtz_f16_f32 v196, v28, v29                         // 00000000A638: D29600C4 00023B1C
	v_mov_b32_e32 v28, v242                                    // 00000000A640: 7E3803F2
	v_mov_b32_e32 v29, v243                                    // 00000000A644: 7E3A03F3
	v_cvt_pkrtz_f16_f32 v197, v28, v29                         // 00000000A648: D29600C5 00023B1C
	v_mov_b32_e32 v28, v244                                    // 00000000A650: 7E3803F4
	v_mov_b32_e32 v29, v245                                    // 00000000A654: 7E3A03F5
	v_cvt_pkrtz_f16_f32 v198, v28, v29                         // 00000000A658: D29600C6 00023B1C
	v_mov_b32_e32 v28, v246                                    // 00000000A660: 7E3803F6
	v_mov_b32_e32 v29, v247                                    // 00000000A664: 7E3A03F7
	v_cvt_pkrtz_f16_f32 v199, v28, v29                         // 00000000A668: D29600C7 00023B1C
	ds_write_b64 v25, v[184:185] offset:33792                  // 00000000A670: D89A8400 0000B819
	ds_write_b64 v25, v[186:187] offset:34320                  // 00000000A678: D89A8610 0000BA19
	ds_write_b64 v25, v[188:189] offset:34848                  // 00000000A680: D89A8820 0000BC19
	ds_write_b64 v25, v[190:191] offset:35376                  // 00000000A688: D89A8A30 0000BE19
	ds_write_b64 v25, v[192:193] offset:35904                  // 00000000A690: D89A8C40 0000C019
	ds_write_b64 v25, v[194:195] offset:36432                  // 00000000A698: D89A8E50 0000C219
	ds_write_b64 v25, v[196:197] offset:36960                  // 00000000A6A0: D89A9060 0000C419
	ds_write_b64 v25, v[198:199] offset:37488                  // 00000000A6A8: D89A9270 0000C619
	s_waitcnt lgkmcnt(0)                                       // 00000000A6B0: BF8CC07F
	s_barrier                                                  // 00000000A6B4: BF8A0000
	ds_read_b64 v[184:185], v24 offset:33792                   // 00000000A6B8: D8EC8400 B8000018
	ds_read_b64 v[186:187], v24 offset:33920                   // 00000000A6C0: D8EC8480 BA000018
	ds_read_b64 v[188:189], v24 offset:33824                   // 00000000A6C8: D8EC8420 BC000018
	ds_read_b64 v[190:191], v24 offset:33952                   // 00000000A6D0: D8EC84A0 BE000018
	ds_read_b64 v[192:193], v24 offset:33856                   // 00000000A6D8: D8EC8440 C0000018
	ds_read_b64 v[194:195], v24 offset:33984                   // 00000000A6E0: D8EC84C0 C2000018
	ds_read_b64 v[196:197], v24 offset:33888                   // 00000000A6E8: D8EC8460 C4000018
	ds_read_b64 v[198:199], v24 offset:34016                   // 00000000A6F0: D8EC84E0 C6000018
	s_waitcnt lgkmcnt(0)                                       // 00000000A6F8: BF8CC07F
	s_mov_b32 s70, s53                                         // 00000000A6FC: BEC60035
	s_mov_b64 exec, s[80:81]                                   // 00000000A700: BEFE0150
	buffer_store_dwordx4 v[184:187], v6, s[40:43], 0 idxen     // 00000000A704: E07C2000 800AB806
	s_mov_b32 exec_lo, -1                                      // 00000000A70C: BEFE00C1
	s_mov_b32 exec_hi, -1                                      // 00000000A710: BEFF00C1
	v_add_u32_e32 v6, s70, v6                                  // 00000000A714: 680C0C46
	s_mov_b64 exec, s[80:81]                                   // 00000000A718: BEFE0150
	buffer_store_dwordx4 v[188:191], v6, s[40:43], 0 idxen     // 00000000A71C: E07C2000 800ABC06
	s_mov_b32 exec_lo, -1                                      // 00000000A724: BEFE00C1
	s_mov_b32 exec_hi, -1                                      // 00000000A728: BEFF00C1
	v_add_u32_e32 v6, s70, v6                                  // 00000000A72C: 680C0C46
	s_mov_b64 exec, s[80:81]                                   // 00000000A730: BEFE0150
	buffer_store_dwordx4 v[192:195], v6, s[40:43], 0 idxen     // 00000000A734: E07C2000 800AC006
	s_mov_b32 exec_lo, -1                                      // 00000000A73C: BEFE00C1
	s_mov_b32 exec_hi, -1                                      // 00000000A740: BEFF00C1
	v_add_u32_e32 v6, s70, v6                                  // 00000000A744: 680C0C46
	s_mov_b64 exec, s[80:81]                                   // 00000000A748: BEFE0150
	buffer_store_dwordx4 v[196:199], v6, s[40:43], 0 idxen     // 00000000A74C: E07C2000 800AC406
	s_mov_b32 exec_lo, -1                                      // 00000000A754: BEFE00C1
	s_mov_b32 exec_hi, -1                                      // 00000000A758: BEFF00C1
	v_add_u32_e32 v6, s70, v6                                  // 00000000A75C: 680C0C46
	s_mul_i32 s60, 12, s70                                     // 00000000A760: 923C468C
	v_add_u32_e32 v6, s60, v6                                  // 00000000A764: 680C0C3C
	s_cmp_ge_i32 3, s72                                        // 00000000A768: BF034883
	s_cbranch_scc1 label_1A70                                  // 00000000A76C: BF850000

000000000000a770 <label_1A70>:
	s_waitcnt vmcnt(0) expcnt(0) lgkmcnt(0)                    // 00000000A770: BF8C0000
	s_sub_i32 s60, s77, 1                                      // 00000000A774: 81BC814D
	s_sub_i32 s2, s60, s2                                      // 00000000A778: 8182023C
	s_addk_i32 s75, 0x1                                        // 00000000A77C: B74B0001
	s_cmp_lt_i32 s75, s76                                      // 00000000A780: BF044C4B
	s_cbranch_scc1 label_015D                                  // 00000000A784: BF85E6FB

000000000000a788 <label_1A76>:
	s_waitcnt vmcnt(0) expcnt(0) lgkmcnt(0)                    // 00000000A788: BF8C0000
	s_endpgm                                                   // 00000000A78C: BF810000
